;; amdgpu-corpus repo=ROCm/rocSPARSE kind=compiled arch=gfx950 opt=O3
	.amdgcn_target "amdgcn-amd-amdhsa--gfx950"
	.amdhsa_code_object_version 6
	.section	.text._ZN9rocsparseL31bsrmm_large_blockdim_kernel_extILj8ELj8ELj2EiiffffEEvb20rocsparse_direction_T3_S2_llNS_24const_host_device_scalarIT7_EEPKT2_PKS2_PKT4_S2_PKT5_llS5_PT6_ll16rocsparse_order_21rocsparse_index_base_b,"axG",@progbits,_ZN9rocsparseL31bsrmm_large_blockdim_kernel_extILj8ELj8ELj2EiiffffEEvb20rocsparse_direction_T3_S2_llNS_24const_host_device_scalarIT7_EEPKT2_PKS2_PKT4_S2_PKT5_llS5_PT6_ll16rocsparse_order_21rocsparse_index_base_b,comdat
	.globl	_ZN9rocsparseL31bsrmm_large_blockdim_kernel_extILj8ELj8ELj2EiiffffEEvb20rocsparse_direction_T3_S2_llNS_24const_host_device_scalarIT7_EEPKT2_PKS2_PKT4_S2_PKT5_llS5_PT6_ll16rocsparse_order_21rocsparse_index_base_b ; -- Begin function _ZN9rocsparseL31bsrmm_large_blockdim_kernel_extILj8ELj8ELj2EiiffffEEvb20rocsparse_direction_T3_S2_llNS_24const_host_device_scalarIT7_EEPKT2_PKS2_PKT4_S2_PKT5_llS5_PT6_ll16rocsparse_order_21rocsparse_index_base_b
	.p2align	8
	.type	_ZN9rocsparseL31bsrmm_large_blockdim_kernel_extILj8ELj8ELj2EiiffffEEvb20rocsparse_direction_T3_S2_llNS_24const_host_device_scalarIT7_EEPKT2_PKS2_PKT4_S2_PKT5_llS5_PT6_ll16rocsparse_order_21rocsparse_index_base_b,@function
_ZN9rocsparseL31bsrmm_large_blockdim_kernel_extILj8ELj8ELj2EiiffffEEvb20rocsparse_direction_T3_S2_llNS_24const_host_device_scalarIT7_EEPKT2_PKS2_PKT4_S2_PKT5_llS5_PT6_ll16rocsparse_order_21rocsparse_index_base_b: ; @_ZN9rocsparseL31bsrmm_large_blockdim_kernel_extILj8ELj8ELj2EiiffffEEvb20rocsparse_direction_T3_S2_llNS_24const_host_device_scalarIT7_EEPKT2_PKS2_PKT4_S2_PKT5_llS5_PT6_ll16rocsparse_order_21rocsparse_index_base_b
; %bb.0:
	s_load_dwordx4 s[16:19], s[0:1], 0x80
	s_mov_b32 s4, s3
	s_waitcnt lgkmcnt(0)
	s_bitcmp1_b32 s18, 0
	s_load_dwordx2 s[18:19], s[0:1], 0x20
	s_load_dwordx2 s[28:29], s[0:1], 0x60
	s_cselect_b64 s[8:9], -1, 0
	s_xor_b64 s[6:7], s[8:9], -1
	s_and_b64 vcc, exec, s[8:9]
	s_cbranch_vccnz .LBB0_2
; %bb.1:
	s_waitcnt lgkmcnt(0)
	s_load_dword s18, s[18:19], 0x0
.LBB0_2:
	s_andn2_b64 vcc, exec, s[6:7]
	s_cbranch_vccnz .LBB0_4
; %bb.3:
	s_waitcnt lgkmcnt(0)
	s_load_dword s28, s[28:29], 0x0
.LBB0_4:
	s_waitcnt lgkmcnt(0)
	v_cmp_eq_f32_e64 s[6:7], s18, 0
	v_cmp_eq_f32_e64 s[8:9], s28, 1.0
	s_and_b64 s[6:7], s[6:7], s[8:9]
	s_mov_b32 s34, 0
	s_and_b64 vcc, exec, s[6:7]
	s_cbranch_vccnz .LBB0_48
; %bb.5:
	s_load_dwordx4 s[12:15], s[0:1], 0x0
	s_load_dwordx2 s[6:7], s[0:1], 0x28
	s_waitcnt lgkmcnt(0)
	s_cmp_lt_i32 s2, s14
	s_cselect_b64 s[30:31], -1, 0
	s_cmp_ge_i32 s2, s14
	s_cbranch_scc1 .LBB0_7
; %bb.6:
	s_ashr_i32 s3, s2, 31
	s_lshl_b64 s[8:9], s[2:3], 2
	s_add_u32 s8, s6, s8
	s_addc_u32 s9, s7, s9
	s_load_dword s3, s[8:9], 0x0
	s_waitcnt lgkmcnt(0)
	s_sub_i32 s34, s3, s17
.LBB0_7:
	s_andn2_b64 vcc, exec, s[30:31]
	s_mov_b32 s14, 0
	s_cbranch_vccnz .LBB0_9
; %bb.8:
	s_ashr_i32 s3, s2, 31
	s_lshl_b64 s[8:9], s[2:3], 2
	s_add_u32 s6, s6, s8
	s_addc_u32 s7, s7, s9
	s_load_dword s3, s[6:7], 0x4
	s_waitcnt lgkmcnt(0)
	s_sub_i32 s14, s3, s17
.LBB0_9:
	s_load_dwordx2 s[36:37], s[0:1], 0x68
	s_load_dword s3, s[0:1], 0x40
	v_bfe_u32 v8, v0, 10, 10
	v_lshl_add_u32 v4, s4, 4, v8
	v_add_u32_e32 v2, 8, v4
	v_and_b32_e32 v6, 0x3ff, v0
	s_waitcnt lgkmcnt(0)
	v_cmp_gt_i32_e32 vcc, s3, v6
	s_cmp_ge_i32 s34, s14
	v_cmp_gt_i32_e64 s[4:5], s15, v4
	v_cmp_gt_i32_e64 s[6:7], s15, v2
	s_cbranch_scc1 .LBB0_27
; %bb.10:
	s_load_dwordx4 s[20:23], s[0:1], 0x30
	s_load_dwordx4 s[24:27], s[0:1], 0x48
	v_cmp_gt_i32_e64 s[8:9], s3, v8
	s_and_b64 s[38:39], vcc, s[8:9]
	v_mov_b32_e32 v0, 0x200
	v_lshlrev_b32_e32 v7, 5, v8
	s_bitcmp1_b32 s12, 0
	v_lshl_add_u32 v14, v8, 2, v0
	v_mad_u64_u32 v[0:1], s[10:11], s3, v8, v[6:7]
	v_ashrrev_i32_e32 v5, 31, v4
	s_cselect_b64 s[8:9], -1, 0
	s_cmp_eq_u32 s13, 0
	v_mad_u64_u32 v[12:13], s[10:11], s3, v6, v[8:9]
	s_waitcnt lgkmcnt(0)
	v_mul_lo_u32 v1, s27, v4
	v_mul_lo_u32 v3, s26, v5
	v_mad_u64_u32 v[8:9], s[10:11], s26, v4, 0
	v_mad_u64_u32 v[10:11], s[10:11], s26, v2, 0
	v_add3_u32 v9, v9, v3, v1
	v_ashrrev_i32_e32 v3, 31, v2
	s_cselect_b64 s[10:11], -1, 0
	v_lshlrev_b32_e32 v15, 2, v6
	v_lshlrev_b32_e32 v20, 5, v6
	v_mul_lo_u32 v1, s27, v2
	v_mul_lo_u32 v13, s26, v3
	v_cndmask_b32_e64 v16, v0, v12, s[10:11]
	v_mov_b32_e32 v0, 0
	s_mul_i32 s19, s3, s3
	v_add3_u32 v11, v11, v13, v1
	v_add_u32_e32 v17, 0x200, v20
	v_add_u32_e32 v18, 0x100, v7
	v_mov_b32_e32 v1, v0
	v_add_u32_e32 v19, v15, v7
	v_add_u32_e32 v20, v14, v20
	s_branch .LBB0_13
.LBB0_11:                               ;   in Loop: Header=BB0_13 Depth=1
	s_or_b64 exec, exec, s[12:13]
.LBB0_12:                               ;   in Loop: Header=BB0_13 Depth=1
	s_or_b64 exec, exec, s[10:11]
	s_add_i32 s34, s34, 1
	s_cmp_ge_i32 s34, s14
	; wave barrier
	s_cbranch_scc1 .LBB0_28
.LBB0_13:                               ; =>This Loop Header: Depth=1
                                        ;     Child Loop BB0_23 Depth 2
                                        ;     Child Loop BB0_26 Depth 2
	s_and_saveexec_b64 s[10:11], vcc
	s_cbranch_execz .LBB0_18
; %bb.14:                               ;   in Loop: Header=BB0_13 Depth=1
	s_ashr_i32 s35, s34, 31
	s_lshl_b64 s[12:13], s[34:35], 2
	s_add_u32 s12, s20, s12
	s_addc_u32 s13, s21, s13
	s_load_dword s12, s[12:13], 0x0
	s_waitcnt lgkmcnt(0)
	s_sub_i32 s12, s12, s17
	s_mul_i32 s12, s12, s3
	v_add_u32_e32 v14, s12, v6
	v_ashrrev_i32_e32 v15, 31, v14
	v_mul_lo_u32 v21, s27, v14
	v_mad_u64_u32 v[12:13], s[12:13], s26, v14, 0
	v_mul_lo_u32 v22, s26, v15
	v_add3_u32 v13, v13, v22, v21
	v_lshl_add_u64 v[12:13], v[12:13], 2, s[24:25]
	v_lshl_add_u64 v[14:15], v[14:15], 2, s[24:25]
	s_and_saveexec_b64 s[12:13], s[4:5]
	s_cbranch_execz .LBB0_16
; %bb.15:                               ;   in Loop: Header=BB0_13 Depth=1
	v_lshl_add_u64 v[22:23], v[4:5], 2, v[12:13]
	v_lshl_add_u64 v[24:25], v[8:9], 2, v[14:15]
	v_cndmask_b32_e64 v23, v23, v25, s[8:9]
	v_cndmask_b32_e64 v22, v22, v24, s[8:9]
	global_load_dword v21, v[22:23], off
	s_waitcnt vmcnt(0)
	ds_write_b32 v19, v21
.LBB0_16:                               ;   in Loop: Header=BB0_13 Depth=1
	s_or_b64 exec, exec, s[12:13]
	s_and_b64 exec, exec, s[6:7]
	s_cbranch_execz .LBB0_18
; %bb.17:                               ;   in Loop: Header=BB0_13 Depth=1
	v_lshl_add_u64 v[14:15], v[10:11], 2, v[14:15]
	v_lshl_add_u64 v[12:13], v[2:3], 2, v[12:13]
	v_cndmask_b32_e64 v13, v13, v15, s[8:9]
	v_cndmask_b32_e64 v12, v12, v14, s[8:9]
	global_load_dword v12, v[12:13], off
	s_waitcnt vmcnt(0)
	ds_write_b32 v19, v12 offset:256
.LBB0_18:                               ;   in Loop: Header=BB0_13 Depth=1
	s_or_b64 exec, exec, s[10:11]
	s_and_saveexec_b64 s[10:11], s[38:39]
	s_cbranch_execz .LBB0_20
; %bb.19:                               ;   in Loop: Header=BB0_13 Depth=1
	s_mul_i32 s12, s19, s34
	v_add_u32_e32 v12, s12, v16
	v_ashrrev_i32_e32 v13, 31, v12
	v_lshl_add_u64 v[12:13], v[12:13], 2, s[22:23]
	global_load_dword v12, v[12:13], off
	s_waitcnt vmcnt(0)
	ds_write_b32 v20, v12
.LBB0_20:                               ;   in Loop: Header=BB0_13 Depth=1
	s_or_b64 exec, exec, s[10:11]
	s_waitcnt lgkmcnt(0)
	; wave barrier
	s_and_saveexec_b64 s[10:11], vcc
	s_cbranch_execz .LBB0_12
; %bb.21:                               ;   in Loop: Header=BB0_13 Depth=1
	s_and_saveexec_b64 s[12:13], s[4:5]
	s_cbranch_execz .LBB0_24
; %bb.22:                               ;   in Loop: Header=BB0_13 Depth=1
	v_mov_b32_e32 v12, v17
	v_mov_b32_e32 v13, v7
	s_mov_b32 s29, s3
.LBB0_23:                               ;   Parent Loop BB0_13 Depth=1
                                        ; =>  This Inner Loop Header: Depth=2
	ds_read_b32 v14, v12
	ds_read_b32 v15, v13
	s_add_i32 s29, s29, -1
	v_add_u32_e32 v13, 4, v13
	v_add_u32_e32 v12, 4, v12
	s_cmp_lg_u32 s29, 0
	s_waitcnt lgkmcnt(0)
	v_fma_f32 v0, v14, v15, v0
	s_cbranch_scc1 .LBB0_23
.LBB0_24:                               ;   in Loop: Header=BB0_13 Depth=1
	s_or_b64 exec, exec, s[12:13]
	s_and_saveexec_b64 s[12:13], s[6:7]
	s_cbranch_execz .LBB0_11
; %bb.25:                               ;   in Loop: Header=BB0_13 Depth=1
	v_mov_b32_e32 v12, v17
	s_mov_b32 s29, s3
	v_mov_b32_e32 v13, v18
.LBB0_26:                               ;   Parent Loop BB0_13 Depth=1
                                        ; =>  This Inner Loop Header: Depth=2
	ds_read_b32 v14, v12
	ds_read_b32 v15, v13
	s_add_i32 s29, s29, -1
	v_add_u32_e32 v13, 4, v13
	v_add_u32_e32 v12, 4, v12
	s_cmp_lg_u32 s29, 0
	s_waitcnt lgkmcnt(0)
	v_fma_f32 v1, v14, v15, v1
	s_cbranch_scc1 .LBB0_26
	s_branch .LBB0_11
.LBB0_27:
	v_mov_b32_e32 v0, 0
	v_mov_b32_e32 v1, v0
.LBB0_28:
	s_and_b64 s[4:5], s[30:31], vcc
	s_and_saveexec_b64 s[6:7], s[4:5]
	s_cbranch_execz .LBB0_48
; %bb.29:
	s_mul_i32 s2, s3, s2
	v_add_u32_e32 v6, s2, v6
	s_load_dwordx2 s[2:3], s[0:1], 0x70
	v_ashrrev_i32_e32 v7, 31, v6
	s_cmp_lg_u32 s16, 1
	v_cmp_neq_f32_e64 s[0:1], s28, 0
	s_cselect_b64 s[4:5], -1, 0
	s_waitcnt lgkmcnt(0)
	v_mul_lo_u32 v3, s2, v7
	v_mul_lo_u32 v5, s3, v6
	v_mad_u64_u32 v[8:9], s[6:7], s2, v6, 0
	v_add3_u32 v9, v9, v3, v5
	v_lshl_add_u64 v[8:9], v[8:9], 2, s[36:37]
	v_lshl_add_u64 v[6:7], v[6:7], 2, s[36:37]
	v_cmp_gt_i32_e32 vcc, s15, v4
	s_and_saveexec_b64 s[6:7], vcc
	s_cbranch_execz .LBB0_41
; %bb.30:
	s_and_b64 vcc, exec, s[0:1]
	v_ashrrev_i32_e32 v5, 31, v4
	s_mov_b64 s[8:9], -1
	s_cbranch_vccz .LBB0_36
; %bb.31:
	s_and_b64 vcc, exec, s[4:5]
	s_cbranch_vccz .LBB0_33
; %bb.32:
	v_lshl_add_u64 v[10:11], v[4:5], 2, v[8:9]
	global_load_dword v3, v[10:11], off
	v_mul_f32_e32 v12, s18, v0
	s_mov_b64 s[8:9], 0
	s_waitcnt vmcnt(0)
	v_fmac_f32_e32 v12, s28, v3
	global_store_dword v[10:11], v12, off
.LBB0_33:
	s_andn2_b64 vcc, exec, s[8:9]
	s_cbranch_vccnz .LBB0_35
; %bb.34:
	v_mul_lo_u32 v3, s3, v4
	v_mul_lo_u32 v12, s2, v5
	v_mad_u64_u32 v[10:11], s[8:9], s2, v4, 0
	v_add3_u32 v11, v11, v12, v3
	v_lshl_add_u64 v[10:11], v[10:11], 2, v[6:7]
	global_load_dword v3, v[10:11], off
	v_mul_f32_e32 v12, s18, v0
	s_waitcnt vmcnt(0)
	v_fmac_f32_e32 v12, s28, v3
	global_store_dword v[10:11], v12, off
.LBB0_35:
	s_mov_b64 s[8:9], 0
.LBB0_36:
	s_andn2_b64 vcc, exec, s[8:9]
	s_cbranch_vccnz .LBB0_41
; %bb.37:
	v_mul_f32_e32 v0, s18, v0
	s_mov_b64 s[8:9], -1
	s_and_b64 vcc, exec, s[4:5]
	s_cbranch_vccz .LBB0_39
; %bb.38:
	v_lshl_add_u64 v[10:11], v[4:5], 2, v[8:9]
	global_store_dword v[10:11], v0, off
	s_mov_b64 s[8:9], 0
.LBB0_39:
	s_andn2_b64 vcc, exec, s[8:9]
	s_cbranch_vccnz .LBB0_41
; %bb.40:
	v_mul_lo_u32 v3, s3, v4
	v_mul_lo_u32 v10, s2, v5
	v_mad_u64_u32 v[4:5], s[8:9], s2, v4, 0
	v_add3_u32 v5, v5, v10, v3
	v_lshl_add_u64 v[4:5], v[4:5], 2, v[6:7]
	global_store_dword v[4:5], v0, off
.LBB0_41:
	s_or_b64 exec, exec, s[6:7]
	v_cmp_gt_i32_e32 vcc, s15, v2
	s_and_b64 exec, exec, vcc
	s_cbranch_execz .LBB0_48
; %bb.42:
	v_cndmask_b32_e64 v0, 0, 1, s[4:5]
	s_andn2_b64 vcc, exec, s[0:1]
	v_ashrrev_i32_e32 v3, 31, v2
	v_cmp_ne_u32_e64 s[0:1], 1, v0
	s_cbranch_vccnz .LBB0_49
; %bb.43:
	s_and_b64 vcc, exec, s[0:1]
	s_mov_b64 s[4:5], -1
	s_cbranch_vccnz .LBB0_45
; %bb.44:
	v_lshl_add_u64 v[4:5], v[2:3], 2, v[8:9]
	global_load_dword v0, v[4:5], off
	v_mul_f32_e32 v10, s18, v1
	s_mov_b64 s[4:5], 0
	s_waitcnt vmcnt(0)
	v_fmac_f32_e32 v10, s28, v0
	global_store_dword v[4:5], v10, off
.LBB0_45:
	s_andn2_b64 vcc, exec, s[4:5]
	s_cbranch_vccnz .LBB0_47
; %bb.46:
	v_mul_lo_u32 v0, s3, v2
	v_mul_lo_u32 v10, s2, v3
	v_mad_u64_u32 v[4:5], s[4:5], s2, v2, 0
	v_add3_u32 v5, v5, v10, v0
	v_lshl_add_u64 v[4:5], v[4:5], 2, v[6:7]
	global_load_dword v0, v[4:5], off
	v_mul_f32_e32 v10, s18, v1
	s_waitcnt vmcnt(0)
	v_fmac_f32_e32 v10, s28, v0
	global_store_dword v[4:5], v10, off
.LBB0_47:
	s_cbranch_execz .LBB0_50
.LBB0_48:
	s_endpgm
.LBB0_49:
.LBB0_50:
	v_mul_f32_e32 v0, s18, v1
	s_and_b64 vcc, exec, s[0:1]
	s_mov_b64 s[0:1], -1
	s_cbranch_vccnz .LBB0_52
; %bb.51:
	v_lshl_add_u64 v[4:5], v[2:3], 2, v[8:9]
	s_mov_b64 s[0:1], 0
	global_store_dword v[4:5], v0, off
.LBB0_52:
	s_andn2_b64 vcc, exec, s[0:1]
	s_cbranch_vccnz .LBB0_48
; %bb.53:
	v_mul_lo_u32 v1, s3, v2
	v_mul_lo_u32 v4, s2, v3
	v_mad_u64_u32 v[2:3], s[0:1], s2, v2, 0
	v_add3_u32 v3, v3, v4, v1
	v_lshl_add_u64 v[2:3], v[2:3], 2, v[6:7]
	global_store_dword v[2:3], v0, off
	s_endpgm
	.section	.rodata,"a",@progbits
	.p2align	6, 0x0
	.amdhsa_kernel _ZN9rocsparseL31bsrmm_large_blockdim_kernel_extILj8ELj8ELj2EiiffffEEvb20rocsparse_direction_T3_S2_llNS_24const_host_device_scalarIT7_EEPKT2_PKS2_PKT4_S2_PKT5_llS5_PT6_ll16rocsparse_order_21rocsparse_index_base_b
		.amdhsa_group_segment_fixed_size 768
		.amdhsa_private_segment_fixed_size 0
		.amdhsa_kernarg_size 140
		.amdhsa_user_sgpr_count 2
		.amdhsa_user_sgpr_dispatch_ptr 0
		.amdhsa_user_sgpr_queue_ptr 0
		.amdhsa_user_sgpr_kernarg_segment_ptr 1
		.amdhsa_user_sgpr_dispatch_id 0
		.amdhsa_user_sgpr_kernarg_preload_length 0
		.amdhsa_user_sgpr_kernarg_preload_offset 0
		.amdhsa_user_sgpr_private_segment_size 0
		.amdhsa_uses_dynamic_stack 0
		.amdhsa_enable_private_segment 0
		.amdhsa_system_sgpr_workgroup_id_x 1
		.amdhsa_system_sgpr_workgroup_id_y 1
		.amdhsa_system_sgpr_workgroup_id_z 0
		.amdhsa_system_sgpr_workgroup_info 0
		.amdhsa_system_vgpr_workitem_id 1
		.amdhsa_next_free_vgpr 26
		.amdhsa_next_free_sgpr 40
		.amdhsa_accum_offset 28
		.amdhsa_reserve_vcc 1
		.amdhsa_float_round_mode_32 0
		.amdhsa_float_round_mode_16_64 0
		.amdhsa_float_denorm_mode_32 3
		.amdhsa_float_denorm_mode_16_64 3
		.amdhsa_dx10_clamp 1
		.amdhsa_ieee_mode 1
		.amdhsa_fp16_overflow 0
		.amdhsa_tg_split 0
		.amdhsa_exception_fp_ieee_invalid_op 0
		.amdhsa_exception_fp_denorm_src 0
		.amdhsa_exception_fp_ieee_div_zero 0
		.amdhsa_exception_fp_ieee_overflow 0
		.amdhsa_exception_fp_ieee_underflow 0
		.amdhsa_exception_fp_ieee_inexact 0
		.amdhsa_exception_int_div_zero 0
	.end_amdhsa_kernel
	.section	.text._ZN9rocsparseL31bsrmm_large_blockdim_kernel_extILj8ELj8ELj2EiiffffEEvb20rocsparse_direction_T3_S2_llNS_24const_host_device_scalarIT7_EEPKT2_PKS2_PKT4_S2_PKT5_llS5_PT6_ll16rocsparse_order_21rocsparse_index_base_b,"axG",@progbits,_ZN9rocsparseL31bsrmm_large_blockdim_kernel_extILj8ELj8ELj2EiiffffEEvb20rocsparse_direction_T3_S2_llNS_24const_host_device_scalarIT7_EEPKT2_PKS2_PKT4_S2_PKT5_llS5_PT6_ll16rocsparse_order_21rocsparse_index_base_b,comdat
.Lfunc_end0:
	.size	_ZN9rocsparseL31bsrmm_large_blockdim_kernel_extILj8ELj8ELj2EiiffffEEvb20rocsparse_direction_T3_S2_llNS_24const_host_device_scalarIT7_EEPKT2_PKS2_PKT4_S2_PKT5_llS5_PT6_ll16rocsparse_order_21rocsparse_index_base_b, .Lfunc_end0-_ZN9rocsparseL31bsrmm_large_blockdim_kernel_extILj8ELj8ELj2EiiffffEEvb20rocsparse_direction_T3_S2_llNS_24const_host_device_scalarIT7_EEPKT2_PKS2_PKT4_S2_PKT5_llS5_PT6_ll16rocsparse_order_21rocsparse_index_base_b
                                        ; -- End function
	.set _ZN9rocsparseL31bsrmm_large_blockdim_kernel_extILj8ELj8ELj2EiiffffEEvb20rocsparse_direction_T3_S2_llNS_24const_host_device_scalarIT7_EEPKT2_PKS2_PKT4_S2_PKT5_llS5_PT6_ll16rocsparse_order_21rocsparse_index_base_b.num_vgpr, 26
	.set _ZN9rocsparseL31bsrmm_large_blockdim_kernel_extILj8ELj8ELj2EiiffffEEvb20rocsparse_direction_T3_S2_llNS_24const_host_device_scalarIT7_EEPKT2_PKS2_PKT4_S2_PKT5_llS5_PT6_ll16rocsparse_order_21rocsparse_index_base_b.num_agpr, 0
	.set _ZN9rocsparseL31bsrmm_large_blockdim_kernel_extILj8ELj8ELj2EiiffffEEvb20rocsparse_direction_T3_S2_llNS_24const_host_device_scalarIT7_EEPKT2_PKS2_PKT4_S2_PKT5_llS5_PT6_ll16rocsparse_order_21rocsparse_index_base_b.numbered_sgpr, 40
	.set _ZN9rocsparseL31bsrmm_large_blockdim_kernel_extILj8ELj8ELj2EiiffffEEvb20rocsparse_direction_T3_S2_llNS_24const_host_device_scalarIT7_EEPKT2_PKS2_PKT4_S2_PKT5_llS5_PT6_ll16rocsparse_order_21rocsparse_index_base_b.num_named_barrier, 0
	.set _ZN9rocsparseL31bsrmm_large_blockdim_kernel_extILj8ELj8ELj2EiiffffEEvb20rocsparse_direction_T3_S2_llNS_24const_host_device_scalarIT7_EEPKT2_PKS2_PKT4_S2_PKT5_llS5_PT6_ll16rocsparse_order_21rocsparse_index_base_b.private_seg_size, 0
	.set _ZN9rocsparseL31bsrmm_large_blockdim_kernel_extILj8ELj8ELj2EiiffffEEvb20rocsparse_direction_T3_S2_llNS_24const_host_device_scalarIT7_EEPKT2_PKS2_PKT4_S2_PKT5_llS5_PT6_ll16rocsparse_order_21rocsparse_index_base_b.uses_vcc, 1
	.set _ZN9rocsparseL31bsrmm_large_blockdim_kernel_extILj8ELj8ELj2EiiffffEEvb20rocsparse_direction_T3_S2_llNS_24const_host_device_scalarIT7_EEPKT2_PKS2_PKT4_S2_PKT5_llS5_PT6_ll16rocsparse_order_21rocsparse_index_base_b.uses_flat_scratch, 0
	.set _ZN9rocsparseL31bsrmm_large_blockdim_kernel_extILj8ELj8ELj2EiiffffEEvb20rocsparse_direction_T3_S2_llNS_24const_host_device_scalarIT7_EEPKT2_PKS2_PKT4_S2_PKT5_llS5_PT6_ll16rocsparse_order_21rocsparse_index_base_b.has_dyn_sized_stack, 0
	.set _ZN9rocsparseL31bsrmm_large_blockdim_kernel_extILj8ELj8ELj2EiiffffEEvb20rocsparse_direction_T3_S2_llNS_24const_host_device_scalarIT7_EEPKT2_PKS2_PKT4_S2_PKT5_llS5_PT6_ll16rocsparse_order_21rocsparse_index_base_b.has_recursion, 0
	.set _ZN9rocsparseL31bsrmm_large_blockdim_kernel_extILj8ELj8ELj2EiiffffEEvb20rocsparse_direction_T3_S2_llNS_24const_host_device_scalarIT7_EEPKT2_PKS2_PKT4_S2_PKT5_llS5_PT6_ll16rocsparse_order_21rocsparse_index_base_b.has_indirect_call, 0
	.section	.AMDGPU.csdata,"",@progbits
; Kernel info:
; codeLenInByte = 1616
; TotalNumSgprs: 46
; NumVgprs: 26
; NumAgprs: 0
; TotalNumVgprs: 26
; ScratchSize: 0
; MemoryBound: 0
; FloatMode: 240
; IeeeMode: 1
; LDSByteSize: 768 bytes/workgroup (compile time only)
; SGPRBlocks: 5
; VGPRBlocks: 3
; NumSGPRsForWavesPerEU: 46
; NumVGPRsForWavesPerEU: 26
; AccumOffset: 28
; Occupancy: 8
; WaveLimiterHint : 1
; COMPUTE_PGM_RSRC2:SCRATCH_EN: 0
; COMPUTE_PGM_RSRC2:USER_SGPR: 2
; COMPUTE_PGM_RSRC2:TRAP_HANDLER: 0
; COMPUTE_PGM_RSRC2:TGID_X_EN: 1
; COMPUTE_PGM_RSRC2:TGID_Y_EN: 1
; COMPUTE_PGM_RSRC2:TGID_Z_EN: 0
; COMPUTE_PGM_RSRC2:TIDIG_COMP_CNT: 1
; COMPUTE_PGM_RSRC3_GFX90A:ACCUM_OFFSET: 6
; COMPUTE_PGM_RSRC3_GFX90A:TG_SPLIT: 0
	.section	.text._ZN9rocsparseL31bsrmm_large_blockdim_kernel_extILj4ELj16ELj2EiiffffEEvb20rocsparse_direction_T3_S2_llNS_24const_host_device_scalarIT7_EEPKT2_PKS2_PKT4_S2_PKT5_llS5_PT6_ll16rocsparse_order_21rocsparse_index_base_b,"axG",@progbits,_ZN9rocsparseL31bsrmm_large_blockdim_kernel_extILj4ELj16ELj2EiiffffEEvb20rocsparse_direction_T3_S2_llNS_24const_host_device_scalarIT7_EEPKT2_PKS2_PKT4_S2_PKT5_llS5_PT6_ll16rocsparse_order_21rocsparse_index_base_b,comdat
	.globl	_ZN9rocsparseL31bsrmm_large_blockdim_kernel_extILj4ELj16ELj2EiiffffEEvb20rocsparse_direction_T3_S2_llNS_24const_host_device_scalarIT7_EEPKT2_PKS2_PKT4_S2_PKT5_llS5_PT6_ll16rocsparse_order_21rocsparse_index_base_b ; -- Begin function _ZN9rocsparseL31bsrmm_large_blockdim_kernel_extILj4ELj16ELj2EiiffffEEvb20rocsparse_direction_T3_S2_llNS_24const_host_device_scalarIT7_EEPKT2_PKS2_PKT4_S2_PKT5_llS5_PT6_ll16rocsparse_order_21rocsparse_index_base_b
	.p2align	8
	.type	_ZN9rocsparseL31bsrmm_large_blockdim_kernel_extILj4ELj16ELj2EiiffffEEvb20rocsparse_direction_T3_S2_llNS_24const_host_device_scalarIT7_EEPKT2_PKS2_PKT4_S2_PKT5_llS5_PT6_ll16rocsparse_order_21rocsparse_index_base_b,@function
_ZN9rocsparseL31bsrmm_large_blockdim_kernel_extILj4ELj16ELj2EiiffffEEvb20rocsparse_direction_T3_S2_llNS_24const_host_device_scalarIT7_EEPKT2_PKS2_PKT4_S2_PKT5_llS5_PT6_ll16rocsparse_order_21rocsparse_index_base_b: ; @_ZN9rocsparseL31bsrmm_large_blockdim_kernel_extILj4ELj16ELj2EiiffffEEvb20rocsparse_direction_T3_S2_llNS_24const_host_device_scalarIT7_EEPKT2_PKS2_PKT4_S2_PKT5_llS5_PT6_ll16rocsparse_order_21rocsparse_index_base_b
; %bb.0:
	s_load_dwordx4 s[16:19], s[0:1], 0x80
	s_mov_b32 s4, s3
	s_waitcnt lgkmcnt(0)
	s_bitcmp1_b32 s18, 0
	s_load_dwordx2 s[18:19], s[0:1], 0x20
	s_load_dwordx2 s[28:29], s[0:1], 0x60
	s_cselect_b64 s[8:9], -1, 0
	s_xor_b64 s[6:7], s[8:9], -1
	s_and_b64 vcc, exec, s[8:9]
	s_cbranch_vccnz .LBB1_2
; %bb.1:
	s_waitcnt lgkmcnt(0)
	s_load_dword s18, s[18:19], 0x0
.LBB1_2:
	s_andn2_b64 vcc, exec, s[6:7]
	s_cbranch_vccnz .LBB1_4
; %bb.3:
	s_waitcnt lgkmcnt(0)
	s_load_dword s28, s[28:29], 0x0
.LBB1_4:
	s_waitcnt lgkmcnt(0)
	v_cmp_eq_f32_e64 s[6:7], s18, 0
	v_cmp_eq_f32_e64 s[8:9], s28, 1.0
	s_and_b64 s[6:7], s[6:7], s[8:9]
	s_mov_b32 s34, 0
	s_and_b64 vcc, exec, s[6:7]
	s_cbranch_vccnz .LBB1_48
; %bb.5:
	s_load_dwordx4 s[12:15], s[0:1], 0x0
	s_load_dwordx2 s[6:7], s[0:1], 0x28
	s_waitcnt lgkmcnt(0)
	s_cmp_lt_i32 s2, s14
	s_cselect_b64 s[30:31], -1, 0
	s_cmp_ge_i32 s2, s14
	s_cbranch_scc1 .LBB1_7
; %bb.6:
	s_ashr_i32 s3, s2, 31
	s_lshl_b64 s[8:9], s[2:3], 2
	s_add_u32 s8, s6, s8
	s_addc_u32 s9, s7, s9
	s_load_dword s3, s[8:9], 0x0
	s_waitcnt lgkmcnt(0)
	s_sub_i32 s34, s3, s17
.LBB1_7:
	s_andn2_b64 vcc, exec, s[30:31]
	s_mov_b32 s14, 0
	s_cbranch_vccnz .LBB1_9
; %bb.8:
	s_ashr_i32 s3, s2, 31
	s_lshl_b64 s[8:9], s[2:3], 2
	s_add_u32 s6, s6, s8
	s_addc_u32 s7, s7, s9
	s_load_dword s3, s[6:7], 0x4
	s_waitcnt lgkmcnt(0)
	s_sub_i32 s14, s3, s17
.LBB1_9:
	s_load_dwordx2 s[36:37], s[0:1], 0x68
	s_load_dword s3, s[0:1], 0x40
	v_bfe_u32 v8, v0, 10, 10
	v_lshl_add_u32 v4, s4, 5, v8
	v_add_u32_e32 v2, 16, v4
	v_and_b32_e32 v6, 0x3ff, v0
	s_waitcnt lgkmcnt(0)
	v_cmp_gt_i32_e32 vcc, s3, v6
	s_cmp_ge_i32 s34, s14
	v_cmp_gt_i32_e64 s[4:5], s15, v4
	v_cmp_gt_i32_e64 s[6:7], s15, v2
	s_cbranch_scc1 .LBB1_27
; %bb.10:
	s_load_dwordx4 s[20:23], s[0:1], 0x30
	s_load_dwordx4 s[24:27], s[0:1], 0x48
	v_cmp_gt_i32_e64 s[8:9], s3, v8
	s_and_b64 s[38:39], vcc, s[8:9]
	v_mov_b32_e32 v0, 0x200
	v_lshlrev_b32_e32 v7, 4, v8
	s_bitcmp1_b32 s12, 0
	v_lshl_add_u32 v14, v8, 2, v0
	v_mad_u64_u32 v[0:1], s[10:11], s3, v8, v[6:7]
	v_ashrrev_i32_e32 v5, 31, v4
	s_cselect_b64 s[8:9], -1, 0
	s_cmp_eq_u32 s13, 0
	v_mad_u64_u32 v[12:13], s[10:11], s3, v6, v[8:9]
	s_waitcnt lgkmcnt(0)
	v_mul_lo_u32 v1, s27, v4
	v_mul_lo_u32 v3, s26, v5
	v_mad_u64_u32 v[8:9], s[10:11], s26, v4, 0
	v_mad_u64_u32 v[10:11], s[10:11], s26, v2, 0
	v_add3_u32 v9, v9, v3, v1
	v_ashrrev_i32_e32 v3, 31, v2
	s_cselect_b64 s[10:11], -1, 0
	v_lshlrev_b32_e32 v15, 2, v6
	v_lshlrev_b32_e32 v20, 4, v6
	v_mul_lo_u32 v1, s27, v2
	v_mul_lo_u32 v13, s26, v3
	v_cndmask_b32_e64 v16, v0, v12, s[10:11]
	v_mov_b32_e32 v0, 0
	s_mul_i32 s19, s3, s3
	v_add3_u32 v11, v11, v13, v1
	v_add_u32_e32 v17, 0x200, v20
	v_add_u32_e32 v18, 0x100, v7
	v_mov_b32_e32 v1, v0
	v_add_u32_e32 v19, v15, v7
	v_add_u32_e32 v20, v14, v20
	s_branch .LBB1_13
.LBB1_11:                               ;   in Loop: Header=BB1_13 Depth=1
	s_or_b64 exec, exec, s[12:13]
.LBB1_12:                               ;   in Loop: Header=BB1_13 Depth=1
	s_or_b64 exec, exec, s[10:11]
	s_add_i32 s34, s34, 1
	s_cmp_ge_i32 s34, s14
	; wave barrier
	s_cbranch_scc1 .LBB1_28
.LBB1_13:                               ; =>This Loop Header: Depth=1
                                        ;     Child Loop BB1_23 Depth 2
                                        ;     Child Loop BB1_26 Depth 2
	s_and_saveexec_b64 s[10:11], vcc
	s_cbranch_execz .LBB1_18
; %bb.14:                               ;   in Loop: Header=BB1_13 Depth=1
	s_ashr_i32 s35, s34, 31
	s_lshl_b64 s[12:13], s[34:35], 2
	s_add_u32 s12, s20, s12
	s_addc_u32 s13, s21, s13
	s_load_dword s12, s[12:13], 0x0
	s_waitcnt lgkmcnt(0)
	s_sub_i32 s12, s12, s17
	s_mul_i32 s12, s12, s3
	v_add_u32_e32 v14, s12, v6
	v_ashrrev_i32_e32 v15, 31, v14
	v_mul_lo_u32 v21, s27, v14
	v_mad_u64_u32 v[12:13], s[12:13], s26, v14, 0
	v_mul_lo_u32 v22, s26, v15
	v_add3_u32 v13, v13, v22, v21
	v_lshl_add_u64 v[12:13], v[12:13], 2, s[24:25]
	v_lshl_add_u64 v[14:15], v[14:15], 2, s[24:25]
	s_and_saveexec_b64 s[12:13], s[4:5]
	s_cbranch_execz .LBB1_16
; %bb.15:                               ;   in Loop: Header=BB1_13 Depth=1
	v_lshl_add_u64 v[22:23], v[4:5], 2, v[12:13]
	v_lshl_add_u64 v[24:25], v[8:9], 2, v[14:15]
	v_cndmask_b32_e64 v23, v23, v25, s[8:9]
	v_cndmask_b32_e64 v22, v22, v24, s[8:9]
	global_load_dword v21, v[22:23], off
	s_waitcnt vmcnt(0)
	ds_write_b32 v19, v21
.LBB1_16:                               ;   in Loop: Header=BB1_13 Depth=1
	s_or_b64 exec, exec, s[12:13]
	s_and_b64 exec, exec, s[6:7]
	s_cbranch_execz .LBB1_18
; %bb.17:                               ;   in Loop: Header=BB1_13 Depth=1
	v_lshl_add_u64 v[14:15], v[10:11], 2, v[14:15]
	v_lshl_add_u64 v[12:13], v[2:3], 2, v[12:13]
	v_cndmask_b32_e64 v13, v13, v15, s[8:9]
	v_cndmask_b32_e64 v12, v12, v14, s[8:9]
	global_load_dword v12, v[12:13], off
	s_waitcnt vmcnt(0)
	ds_write_b32 v19, v12 offset:256
.LBB1_18:                               ;   in Loop: Header=BB1_13 Depth=1
	s_or_b64 exec, exec, s[10:11]
	s_and_saveexec_b64 s[10:11], s[38:39]
	s_cbranch_execz .LBB1_20
; %bb.19:                               ;   in Loop: Header=BB1_13 Depth=1
	s_mul_i32 s12, s19, s34
	v_add_u32_e32 v12, s12, v16
	v_ashrrev_i32_e32 v13, 31, v12
	v_lshl_add_u64 v[12:13], v[12:13], 2, s[22:23]
	global_load_dword v12, v[12:13], off
	s_waitcnt vmcnt(0)
	ds_write_b32 v20, v12
.LBB1_20:                               ;   in Loop: Header=BB1_13 Depth=1
	s_or_b64 exec, exec, s[10:11]
	s_waitcnt lgkmcnt(0)
	; wave barrier
	s_and_saveexec_b64 s[10:11], vcc
	s_cbranch_execz .LBB1_12
; %bb.21:                               ;   in Loop: Header=BB1_13 Depth=1
	s_and_saveexec_b64 s[12:13], s[4:5]
	s_cbranch_execz .LBB1_24
; %bb.22:                               ;   in Loop: Header=BB1_13 Depth=1
	v_mov_b32_e32 v12, v17
	v_mov_b32_e32 v13, v7
	s_mov_b32 s29, s3
.LBB1_23:                               ;   Parent Loop BB1_13 Depth=1
                                        ; =>  This Inner Loop Header: Depth=2
	ds_read_b32 v14, v12
	ds_read_b32 v15, v13
	s_add_i32 s29, s29, -1
	v_add_u32_e32 v13, 4, v13
	v_add_u32_e32 v12, 4, v12
	s_cmp_lg_u32 s29, 0
	s_waitcnt lgkmcnt(0)
	v_fma_f32 v0, v14, v15, v0
	s_cbranch_scc1 .LBB1_23
.LBB1_24:                               ;   in Loop: Header=BB1_13 Depth=1
	s_or_b64 exec, exec, s[12:13]
	s_and_saveexec_b64 s[12:13], s[6:7]
	s_cbranch_execz .LBB1_11
; %bb.25:                               ;   in Loop: Header=BB1_13 Depth=1
	v_mov_b32_e32 v12, v17
	s_mov_b32 s29, s3
	v_mov_b32_e32 v13, v18
.LBB1_26:                               ;   Parent Loop BB1_13 Depth=1
                                        ; =>  This Inner Loop Header: Depth=2
	ds_read_b32 v14, v12
	ds_read_b32 v15, v13
	s_add_i32 s29, s29, -1
	v_add_u32_e32 v13, 4, v13
	v_add_u32_e32 v12, 4, v12
	s_cmp_lg_u32 s29, 0
	s_waitcnt lgkmcnt(0)
	v_fma_f32 v1, v14, v15, v1
	s_cbranch_scc1 .LBB1_26
	s_branch .LBB1_11
.LBB1_27:
	v_mov_b32_e32 v0, 0
	v_mov_b32_e32 v1, v0
.LBB1_28:
	s_and_b64 s[4:5], s[30:31], vcc
	s_and_saveexec_b64 s[6:7], s[4:5]
	s_cbranch_execz .LBB1_48
; %bb.29:
	s_mul_i32 s2, s3, s2
	v_add_u32_e32 v6, s2, v6
	s_load_dwordx2 s[2:3], s[0:1], 0x70
	v_ashrrev_i32_e32 v7, 31, v6
	s_cmp_lg_u32 s16, 1
	v_cmp_neq_f32_e64 s[0:1], s28, 0
	s_cselect_b64 s[4:5], -1, 0
	s_waitcnt lgkmcnt(0)
	v_mul_lo_u32 v3, s2, v7
	v_mul_lo_u32 v5, s3, v6
	v_mad_u64_u32 v[8:9], s[6:7], s2, v6, 0
	v_add3_u32 v9, v9, v3, v5
	v_lshl_add_u64 v[8:9], v[8:9], 2, s[36:37]
	v_lshl_add_u64 v[6:7], v[6:7], 2, s[36:37]
	v_cmp_gt_i32_e32 vcc, s15, v4
	s_and_saveexec_b64 s[6:7], vcc
	s_cbranch_execz .LBB1_41
; %bb.30:
	s_and_b64 vcc, exec, s[0:1]
	v_ashrrev_i32_e32 v5, 31, v4
	s_mov_b64 s[8:9], -1
	s_cbranch_vccz .LBB1_36
; %bb.31:
	s_and_b64 vcc, exec, s[4:5]
	s_cbranch_vccz .LBB1_33
; %bb.32:
	v_lshl_add_u64 v[10:11], v[4:5], 2, v[8:9]
	global_load_dword v3, v[10:11], off
	v_mul_f32_e32 v12, s18, v0
	s_mov_b64 s[8:9], 0
	s_waitcnt vmcnt(0)
	v_fmac_f32_e32 v12, s28, v3
	global_store_dword v[10:11], v12, off
.LBB1_33:
	s_andn2_b64 vcc, exec, s[8:9]
	s_cbranch_vccnz .LBB1_35
; %bb.34:
	v_mul_lo_u32 v3, s3, v4
	v_mul_lo_u32 v12, s2, v5
	v_mad_u64_u32 v[10:11], s[8:9], s2, v4, 0
	v_add3_u32 v11, v11, v12, v3
	v_lshl_add_u64 v[10:11], v[10:11], 2, v[6:7]
	global_load_dword v3, v[10:11], off
	v_mul_f32_e32 v12, s18, v0
	s_waitcnt vmcnt(0)
	v_fmac_f32_e32 v12, s28, v3
	global_store_dword v[10:11], v12, off
.LBB1_35:
	s_mov_b64 s[8:9], 0
.LBB1_36:
	s_andn2_b64 vcc, exec, s[8:9]
	s_cbranch_vccnz .LBB1_41
; %bb.37:
	v_mul_f32_e32 v0, s18, v0
	s_mov_b64 s[8:9], -1
	s_and_b64 vcc, exec, s[4:5]
	s_cbranch_vccz .LBB1_39
; %bb.38:
	v_lshl_add_u64 v[10:11], v[4:5], 2, v[8:9]
	global_store_dword v[10:11], v0, off
	s_mov_b64 s[8:9], 0
.LBB1_39:
	s_andn2_b64 vcc, exec, s[8:9]
	s_cbranch_vccnz .LBB1_41
; %bb.40:
	v_mul_lo_u32 v3, s3, v4
	v_mul_lo_u32 v10, s2, v5
	v_mad_u64_u32 v[4:5], s[8:9], s2, v4, 0
	v_add3_u32 v5, v5, v10, v3
	v_lshl_add_u64 v[4:5], v[4:5], 2, v[6:7]
	global_store_dword v[4:5], v0, off
.LBB1_41:
	s_or_b64 exec, exec, s[6:7]
	v_cmp_gt_i32_e32 vcc, s15, v2
	s_and_b64 exec, exec, vcc
	s_cbranch_execz .LBB1_48
; %bb.42:
	v_cndmask_b32_e64 v0, 0, 1, s[4:5]
	s_andn2_b64 vcc, exec, s[0:1]
	v_ashrrev_i32_e32 v3, 31, v2
	v_cmp_ne_u32_e64 s[0:1], 1, v0
	s_cbranch_vccnz .LBB1_49
; %bb.43:
	s_and_b64 vcc, exec, s[0:1]
	s_mov_b64 s[4:5], -1
	s_cbranch_vccnz .LBB1_45
; %bb.44:
	v_lshl_add_u64 v[4:5], v[2:3], 2, v[8:9]
	global_load_dword v0, v[4:5], off
	v_mul_f32_e32 v10, s18, v1
	s_mov_b64 s[4:5], 0
	s_waitcnt vmcnt(0)
	v_fmac_f32_e32 v10, s28, v0
	global_store_dword v[4:5], v10, off
.LBB1_45:
	s_andn2_b64 vcc, exec, s[4:5]
	s_cbranch_vccnz .LBB1_47
; %bb.46:
	v_mul_lo_u32 v0, s3, v2
	v_mul_lo_u32 v10, s2, v3
	v_mad_u64_u32 v[4:5], s[4:5], s2, v2, 0
	v_add3_u32 v5, v5, v10, v0
	v_lshl_add_u64 v[4:5], v[4:5], 2, v[6:7]
	global_load_dword v0, v[4:5], off
	v_mul_f32_e32 v10, s18, v1
	s_waitcnt vmcnt(0)
	v_fmac_f32_e32 v10, s28, v0
	global_store_dword v[4:5], v10, off
.LBB1_47:
	s_cbranch_execz .LBB1_50
.LBB1_48:
	s_endpgm
.LBB1_49:
.LBB1_50:
	v_mul_f32_e32 v0, s18, v1
	s_and_b64 vcc, exec, s[0:1]
	s_mov_b64 s[0:1], -1
	s_cbranch_vccnz .LBB1_52
; %bb.51:
	v_lshl_add_u64 v[4:5], v[2:3], 2, v[8:9]
	s_mov_b64 s[0:1], 0
	global_store_dword v[4:5], v0, off
.LBB1_52:
	s_andn2_b64 vcc, exec, s[0:1]
	s_cbranch_vccnz .LBB1_48
; %bb.53:
	v_mul_lo_u32 v1, s3, v2
	v_mul_lo_u32 v4, s2, v3
	v_mad_u64_u32 v[2:3], s[0:1], s2, v2, 0
	v_add3_u32 v3, v3, v4, v1
	v_lshl_add_u64 v[2:3], v[2:3], 2, v[6:7]
	global_store_dword v[2:3], v0, off
	s_endpgm
	.section	.rodata,"a",@progbits
	.p2align	6, 0x0
	.amdhsa_kernel _ZN9rocsparseL31bsrmm_large_blockdim_kernel_extILj4ELj16ELj2EiiffffEEvb20rocsparse_direction_T3_S2_llNS_24const_host_device_scalarIT7_EEPKT2_PKS2_PKT4_S2_PKT5_llS5_PT6_ll16rocsparse_order_21rocsparse_index_base_b
		.amdhsa_group_segment_fixed_size 576
		.amdhsa_private_segment_fixed_size 0
		.amdhsa_kernarg_size 140
		.amdhsa_user_sgpr_count 2
		.amdhsa_user_sgpr_dispatch_ptr 0
		.amdhsa_user_sgpr_queue_ptr 0
		.amdhsa_user_sgpr_kernarg_segment_ptr 1
		.amdhsa_user_sgpr_dispatch_id 0
		.amdhsa_user_sgpr_kernarg_preload_length 0
		.amdhsa_user_sgpr_kernarg_preload_offset 0
		.amdhsa_user_sgpr_private_segment_size 0
		.amdhsa_uses_dynamic_stack 0
		.amdhsa_enable_private_segment 0
		.amdhsa_system_sgpr_workgroup_id_x 1
		.amdhsa_system_sgpr_workgroup_id_y 1
		.amdhsa_system_sgpr_workgroup_id_z 0
		.amdhsa_system_sgpr_workgroup_info 0
		.amdhsa_system_vgpr_workitem_id 1
		.amdhsa_next_free_vgpr 26
		.amdhsa_next_free_sgpr 40
		.amdhsa_accum_offset 28
		.amdhsa_reserve_vcc 1
		.amdhsa_float_round_mode_32 0
		.amdhsa_float_round_mode_16_64 0
		.amdhsa_float_denorm_mode_32 3
		.amdhsa_float_denorm_mode_16_64 3
		.amdhsa_dx10_clamp 1
		.amdhsa_ieee_mode 1
		.amdhsa_fp16_overflow 0
		.amdhsa_tg_split 0
		.amdhsa_exception_fp_ieee_invalid_op 0
		.amdhsa_exception_fp_denorm_src 0
		.amdhsa_exception_fp_ieee_div_zero 0
		.amdhsa_exception_fp_ieee_overflow 0
		.amdhsa_exception_fp_ieee_underflow 0
		.amdhsa_exception_fp_ieee_inexact 0
		.amdhsa_exception_int_div_zero 0
	.end_amdhsa_kernel
	.section	.text._ZN9rocsparseL31bsrmm_large_blockdim_kernel_extILj4ELj16ELj2EiiffffEEvb20rocsparse_direction_T3_S2_llNS_24const_host_device_scalarIT7_EEPKT2_PKS2_PKT4_S2_PKT5_llS5_PT6_ll16rocsparse_order_21rocsparse_index_base_b,"axG",@progbits,_ZN9rocsparseL31bsrmm_large_blockdim_kernel_extILj4ELj16ELj2EiiffffEEvb20rocsparse_direction_T3_S2_llNS_24const_host_device_scalarIT7_EEPKT2_PKS2_PKT4_S2_PKT5_llS5_PT6_ll16rocsparse_order_21rocsparse_index_base_b,comdat
.Lfunc_end1:
	.size	_ZN9rocsparseL31bsrmm_large_blockdim_kernel_extILj4ELj16ELj2EiiffffEEvb20rocsparse_direction_T3_S2_llNS_24const_host_device_scalarIT7_EEPKT2_PKS2_PKT4_S2_PKT5_llS5_PT6_ll16rocsparse_order_21rocsparse_index_base_b, .Lfunc_end1-_ZN9rocsparseL31bsrmm_large_blockdim_kernel_extILj4ELj16ELj2EiiffffEEvb20rocsparse_direction_T3_S2_llNS_24const_host_device_scalarIT7_EEPKT2_PKS2_PKT4_S2_PKT5_llS5_PT6_ll16rocsparse_order_21rocsparse_index_base_b
                                        ; -- End function
	.set _ZN9rocsparseL31bsrmm_large_blockdim_kernel_extILj4ELj16ELj2EiiffffEEvb20rocsparse_direction_T3_S2_llNS_24const_host_device_scalarIT7_EEPKT2_PKS2_PKT4_S2_PKT5_llS5_PT6_ll16rocsparse_order_21rocsparse_index_base_b.num_vgpr, 26
	.set _ZN9rocsparseL31bsrmm_large_blockdim_kernel_extILj4ELj16ELj2EiiffffEEvb20rocsparse_direction_T3_S2_llNS_24const_host_device_scalarIT7_EEPKT2_PKS2_PKT4_S2_PKT5_llS5_PT6_ll16rocsparse_order_21rocsparse_index_base_b.num_agpr, 0
	.set _ZN9rocsparseL31bsrmm_large_blockdim_kernel_extILj4ELj16ELj2EiiffffEEvb20rocsparse_direction_T3_S2_llNS_24const_host_device_scalarIT7_EEPKT2_PKS2_PKT4_S2_PKT5_llS5_PT6_ll16rocsparse_order_21rocsparse_index_base_b.numbered_sgpr, 40
	.set _ZN9rocsparseL31bsrmm_large_blockdim_kernel_extILj4ELj16ELj2EiiffffEEvb20rocsparse_direction_T3_S2_llNS_24const_host_device_scalarIT7_EEPKT2_PKS2_PKT4_S2_PKT5_llS5_PT6_ll16rocsparse_order_21rocsparse_index_base_b.num_named_barrier, 0
	.set _ZN9rocsparseL31bsrmm_large_blockdim_kernel_extILj4ELj16ELj2EiiffffEEvb20rocsparse_direction_T3_S2_llNS_24const_host_device_scalarIT7_EEPKT2_PKS2_PKT4_S2_PKT5_llS5_PT6_ll16rocsparse_order_21rocsparse_index_base_b.private_seg_size, 0
	.set _ZN9rocsparseL31bsrmm_large_blockdim_kernel_extILj4ELj16ELj2EiiffffEEvb20rocsparse_direction_T3_S2_llNS_24const_host_device_scalarIT7_EEPKT2_PKS2_PKT4_S2_PKT5_llS5_PT6_ll16rocsparse_order_21rocsparse_index_base_b.uses_vcc, 1
	.set _ZN9rocsparseL31bsrmm_large_blockdim_kernel_extILj4ELj16ELj2EiiffffEEvb20rocsparse_direction_T3_S2_llNS_24const_host_device_scalarIT7_EEPKT2_PKS2_PKT4_S2_PKT5_llS5_PT6_ll16rocsparse_order_21rocsparse_index_base_b.uses_flat_scratch, 0
	.set _ZN9rocsparseL31bsrmm_large_blockdim_kernel_extILj4ELj16ELj2EiiffffEEvb20rocsparse_direction_T3_S2_llNS_24const_host_device_scalarIT7_EEPKT2_PKS2_PKT4_S2_PKT5_llS5_PT6_ll16rocsparse_order_21rocsparse_index_base_b.has_dyn_sized_stack, 0
	.set _ZN9rocsparseL31bsrmm_large_blockdim_kernel_extILj4ELj16ELj2EiiffffEEvb20rocsparse_direction_T3_S2_llNS_24const_host_device_scalarIT7_EEPKT2_PKS2_PKT4_S2_PKT5_llS5_PT6_ll16rocsparse_order_21rocsparse_index_base_b.has_recursion, 0
	.set _ZN9rocsparseL31bsrmm_large_blockdim_kernel_extILj4ELj16ELj2EiiffffEEvb20rocsparse_direction_T3_S2_llNS_24const_host_device_scalarIT7_EEPKT2_PKS2_PKT4_S2_PKT5_llS5_PT6_ll16rocsparse_order_21rocsparse_index_base_b.has_indirect_call, 0
	.section	.AMDGPU.csdata,"",@progbits
; Kernel info:
; codeLenInByte = 1616
; TotalNumSgprs: 46
; NumVgprs: 26
; NumAgprs: 0
; TotalNumVgprs: 26
; ScratchSize: 0
; MemoryBound: 0
; FloatMode: 240
; IeeeMode: 1
; LDSByteSize: 576 bytes/workgroup (compile time only)
; SGPRBlocks: 5
; VGPRBlocks: 3
; NumSGPRsForWavesPerEU: 46
; NumVGPRsForWavesPerEU: 26
; AccumOffset: 28
; Occupancy: 8
; WaveLimiterHint : 1
; COMPUTE_PGM_RSRC2:SCRATCH_EN: 0
; COMPUTE_PGM_RSRC2:USER_SGPR: 2
; COMPUTE_PGM_RSRC2:TRAP_HANDLER: 0
; COMPUTE_PGM_RSRC2:TGID_X_EN: 1
; COMPUTE_PGM_RSRC2:TGID_Y_EN: 1
; COMPUTE_PGM_RSRC2:TGID_Z_EN: 0
; COMPUTE_PGM_RSRC2:TIDIG_COMP_CNT: 1
; COMPUTE_PGM_RSRC3_GFX90A:ACCUM_OFFSET: 6
; COMPUTE_PGM_RSRC3_GFX90A:TG_SPLIT: 0
	.section	.text._ZN9rocsparseL31bsrmm_large_blockdim_kernel_extILj16ELj16ELj2EiiffffEEvb20rocsparse_direction_T3_S2_llNS_24const_host_device_scalarIT7_EEPKT2_PKS2_PKT4_S2_PKT5_llS5_PT6_ll16rocsparse_order_21rocsparse_index_base_b,"axG",@progbits,_ZN9rocsparseL31bsrmm_large_blockdim_kernel_extILj16ELj16ELj2EiiffffEEvb20rocsparse_direction_T3_S2_llNS_24const_host_device_scalarIT7_EEPKT2_PKS2_PKT4_S2_PKT5_llS5_PT6_ll16rocsparse_order_21rocsparse_index_base_b,comdat
	.globl	_ZN9rocsparseL31bsrmm_large_blockdim_kernel_extILj16ELj16ELj2EiiffffEEvb20rocsparse_direction_T3_S2_llNS_24const_host_device_scalarIT7_EEPKT2_PKS2_PKT4_S2_PKT5_llS5_PT6_ll16rocsparse_order_21rocsparse_index_base_b ; -- Begin function _ZN9rocsparseL31bsrmm_large_blockdim_kernel_extILj16ELj16ELj2EiiffffEEvb20rocsparse_direction_T3_S2_llNS_24const_host_device_scalarIT7_EEPKT2_PKS2_PKT4_S2_PKT5_llS5_PT6_ll16rocsparse_order_21rocsparse_index_base_b
	.p2align	8
	.type	_ZN9rocsparseL31bsrmm_large_blockdim_kernel_extILj16ELj16ELj2EiiffffEEvb20rocsparse_direction_T3_S2_llNS_24const_host_device_scalarIT7_EEPKT2_PKS2_PKT4_S2_PKT5_llS5_PT6_ll16rocsparse_order_21rocsparse_index_base_b,@function
_ZN9rocsparseL31bsrmm_large_blockdim_kernel_extILj16ELj16ELj2EiiffffEEvb20rocsparse_direction_T3_S2_llNS_24const_host_device_scalarIT7_EEPKT2_PKS2_PKT4_S2_PKT5_llS5_PT6_ll16rocsparse_order_21rocsparse_index_base_b: ; @_ZN9rocsparseL31bsrmm_large_blockdim_kernel_extILj16ELj16ELj2EiiffffEEvb20rocsparse_direction_T3_S2_llNS_24const_host_device_scalarIT7_EEPKT2_PKS2_PKT4_S2_PKT5_llS5_PT6_ll16rocsparse_order_21rocsparse_index_base_b
; %bb.0:
	s_load_dwordx4 s[16:19], s[0:1], 0x80
	s_mov_b32 s4, s3
	s_waitcnt lgkmcnt(0)
	s_bitcmp1_b32 s18, 0
	s_load_dwordx2 s[18:19], s[0:1], 0x20
	s_load_dwordx2 s[28:29], s[0:1], 0x60
	s_cselect_b64 s[8:9], -1, 0
	s_xor_b64 s[6:7], s[8:9], -1
	s_and_b64 vcc, exec, s[8:9]
	s_cbranch_vccnz .LBB2_2
; %bb.1:
	s_waitcnt lgkmcnt(0)
	s_load_dword s18, s[18:19], 0x0
.LBB2_2:
	s_andn2_b64 vcc, exec, s[6:7]
	s_cbranch_vccnz .LBB2_4
; %bb.3:
	s_waitcnt lgkmcnt(0)
	s_load_dword s28, s[28:29], 0x0
.LBB2_4:
	s_waitcnt lgkmcnt(0)
	v_cmp_eq_f32_e64 s[6:7], s18, 0
	v_cmp_eq_f32_e64 s[8:9], s28, 1.0
	s_and_b64 s[6:7], s[6:7], s[8:9]
	s_mov_b32 s34, 0
	s_and_b64 vcc, exec, s[6:7]
	s_cbranch_vccnz .LBB2_48
; %bb.5:
	s_load_dwordx4 s[12:15], s[0:1], 0x0
	s_load_dwordx2 s[6:7], s[0:1], 0x28
	s_waitcnt lgkmcnt(0)
	s_cmp_lt_i32 s2, s14
	s_cselect_b64 s[30:31], -1, 0
	s_cmp_ge_i32 s2, s14
	s_cbranch_scc1 .LBB2_7
; %bb.6:
	s_ashr_i32 s3, s2, 31
	s_lshl_b64 s[8:9], s[2:3], 2
	s_add_u32 s8, s6, s8
	s_addc_u32 s9, s7, s9
	s_load_dword s3, s[8:9], 0x0
	s_waitcnt lgkmcnt(0)
	s_sub_i32 s34, s3, s17
.LBB2_7:
	s_andn2_b64 vcc, exec, s[30:31]
	s_mov_b32 s14, 0
	s_cbranch_vccnz .LBB2_9
; %bb.8:
	s_ashr_i32 s3, s2, 31
	s_lshl_b64 s[8:9], s[2:3], 2
	s_add_u32 s6, s6, s8
	s_addc_u32 s7, s7, s9
	s_load_dword s3, s[6:7], 0x4
	s_waitcnt lgkmcnt(0)
	s_sub_i32 s14, s3, s17
.LBB2_9:
	s_load_dwordx2 s[36:37], s[0:1], 0x68
	s_load_dword s3, s[0:1], 0x40
	v_bfe_u32 v8, v0, 10, 10
	v_lshl_add_u32 v4, s4, 5, v8
	v_add_u32_e32 v2, 16, v4
	v_and_b32_e32 v6, 0x3ff, v0
	s_waitcnt lgkmcnt(0)
	v_cmp_gt_i32_e32 vcc, s3, v6
	s_cmp_ge_i32 s34, s14
	v_cmp_gt_i32_e64 s[4:5], s15, v4
	v_cmp_gt_i32_e64 s[6:7], s15, v2
	s_cbranch_scc1 .LBB2_27
; %bb.10:
	s_load_dwordx4 s[20:23], s[0:1], 0x30
	s_load_dwordx4 s[24:27], s[0:1], 0x48
	v_cmp_gt_i32_e64 s[8:9], s3, v8
	s_and_b64 s[38:39], vcc, s[8:9]
	v_mov_b32_e32 v0, 0x800
	v_lshlrev_b32_e32 v7, 6, v8
	s_bitcmp1_b32 s12, 0
	v_lshl_add_u32 v14, v8, 2, v0
	v_mad_u64_u32 v[0:1], s[10:11], s3, v8, v[6:7]
	v_ashrrev_i32_e32 v5, 31, v4
	s_cselect_b64 s[8:9], -1, 0
	s_cmp_eq_u32 s13, 0
	v_mad_u64_u32 v[12:13], s[10:11], s3, v6, v[8:9]
	s_waitcnt lgkmcnt(0)
	v_mul_lo_u32 v1, s27, v4
	v_mul_lo_u32 v3, s26, v5
	v_mad_u64_u32 v[8:9], s[10:11], s26, v4, 0
	v_mad_u64_u32 v[10:11], s[10:11], s26, v2, 0
	v_add3_u32 v9, v9, v3, v1
	v_ashrrev_i32_e32 v3, 31, v2
	s_cselect_b64 s[10:11], -1, 0
	v_lshlrev_b32_e32 v15, 2, v6
	v_lshlrev_b32_e32 v20, 6, v6
	v_mul_lo_u32 v1, s27, v2
	v_mul_lo_u32 v13, s26, v3
	v_cndmask_b32_e64 v16, v0, v12, s[10:11]
	v_mov_b32_e32 v0, 0
	s_mul_i32 s19, s3, s3
	v_add3_u32 v11, v11, v13, v1
	v_add_u32_e32 v17, 0x800, v20
	v_add_u32_e32 v18, 0x400, v7
	v_mov_b32_e32 v1, v0
	v_add_u32_e32 v19, v15, v7
	v_add_u32_e32 v20, v14, v20
	s_branch .LBB2_13
.LBB2_11:                               ;   in Loop: Header=BB2_13 Depth=1
	s_or_b64 exec, exec, s[12:13]
.LBB2_12:                               ;   in Loop: Header=BB2_13 Depth=1
	s_or_b64 exec, exec, s[10:11]
	s_add_i32 s34, s34, 1
	s_cmp_ge_i32 s34, s14
	s_barrier
	s_cbranch_scc1 .LBB2_28
.LBB2_13:                               ; =>This Loop Header: Depth=1
                                        ;     Child Loop BB2_23 Depth 2
                                        ;     Child Loop BB2_26 Depth 2
	s_and_saveexec_b64 s[10:11], vcc
	s_cbranch_execz .LBB2_18
; %bb.14:                               ;   in Loop: Header=BB2_13 Depth=1
	s_ashr_i32 s35, s34, 31
	s_lshl_b64 s[12:13], s[34:35], 2
	s_add_u32 s12, s20, s12
	s_addc_u32 s13, s21, s13
	s_load_dword s12, s[12:13], 0x0
	s_waitcnt lgkmcnt(0)
	s_sub_i32 s12, s12, s17
	s_mul_i32 s12, s12, s3
	v_add_u32_e32 v14, s12, v6
	v_ashrrev_i32_e32 v15, 31, v14
	v_mul_lo_u32 v21, s27, v14
	v_mad_u64_u32 v[12:13], s[12:13], s26, v14, 0
	v_mul_lo_u32 v22, s26, v15
	v_add3_u32 v13, v13, v22, v21
	v_lshl_add_u64 v[12:13], v[12:13], 2, s[24:25]
	v_lshl_add_u64 v[14:15], v[14:15], 2, s[24:25]
	s_and_saveexec_b64 s[12:13], s[4:5]
	s_cbranch_execz .LBB2_16
; %bb.15:                               ;   in Loop: Header=BB2_13 Depth=1
	v_lshl_add_u64 v[22:23], v[4:5], 2, v[12:13]
	v_lshl_add_u64 v[24:25], v[8:9], 2, v[14:15]
	v_cndmask_b32_e64 v23, v23, v25, s[8:9]
	v_cndmask_b32_e64 v22, v22, v24, s[8:9]
	global_load_dword v21, v[22:23], off
	s_waitcnt vmcnt(0)
	ds_write_b32 v19, v21
.LBB2_16:                               ;   in Loop: Header=BB2_13 Depth=1
	s_or_b64 exec, exec, s[12:13]
	s_and_b64 exec, exec, s[6:7]
	s_cbranch_execz .LBB2_18
; %bb.17:                               ;   in Loop: Header=BB2_13 Depth=1
	v_lshl_add_u64 v[14:15], v[10:11], 2, v[14:15]
	v_lshl_add_u64 v[12:13], v[2:3], 2, v[12:13]
	v_cndmask_b32_e64 v13, v13, v15, s[8:9]
	v_cndmask_b32_e64 v12, v12, v14, s[8:9]
	global_load_dword v12, v[12:13], off
	s_waitcnt vmcnt(0)
	ds_write_b32 v19, v12 offset:1024
.LBB2_18:                               ;   in Loop: Header=BB2_13 Depth=1
	s_or_b64 exec, exec, s[10:11]
	s_and_saveexec_b64 s[10:11], s[38:39]
	s_cbranch_execz .LBB2_20
; %bb.19:                               ;   in Loop: Header=BB2_13 Depth=1
	s_mul_i32 s12, s19, s34
	v_add_u32_e32 v12, s12, v16
	v_ashrrev_i32_e32 v13, 31, v12
	v_lshl_add_u64 v[12:13], v[12:13], 2, s[22:23]
	global_load_dword v12, v[12:13], off
	s_waitcnt vmcnt(0)
	ds_write_b32 v20, v12
.LBB2_20:                               ;   in Loop: Header=BB2_13 Depth=1
	s_or_b64 exec, exec, s[10:11]
	s_waitcnt lgkmcnt(0)
	s_barrier
	s_and_saveexec_b64 s[10:11], vcc
	s_cbranch_execz .LBB2_12
; %bb.21:                               ;   in Loop: Header=BB2_13 Depth=1
	s_and_saveexec_b64 s[12:13], s[4:5]
	s_cbranch_execz .LBB2_24
; %bb.22:                               ;   in Loop: Header=BB2_13 Depth=1
	v_mov_b32_e32 v12, v17
	v_mov_b32_e32 v13, v7
	s_mov_b32 s29, s3
.LBB2_23:                               ;   Parent Loop BB2_13 Depth=1
                                        ; =>  This Inner Loop Header: Depth=2
	ds_read_b32 v14, v12
	ds_read_b32 v15, v13
	s_add_i32 s29, s29, -1
	v_add_u32_e32 v13, 4, v13
	v_add_u32_e32 v12, 4, v12
	s_cmp_lg_u32 s29, 0
	s_waitcnt lgkmcnt(0)
	v_fma_f32 v0, v14, v15, v0
	s_cbranch_scc1 .LBB2_23
.LBB2_24:                               ;   in Loop: Header=BB2_13 Depth=1
	s_or_b64 exec, exec, s[12:13]
	s_and_saveexec_b64 s[12:13], s[6:7]
	s_cbranch_execz .LBB2_11
; %bb.25:                               ;   in Loop: Header=BB2_13 Depth=1
	v_mov_b32_e32 v12, v17
	s_mov_b32 s29, s3
	v_mov_b32_e32 v13, v18
.LBB2_26:                               ;   Parent Loop BB2_13 Depth=1
                                        ; =>  This Inner Loop Header: Depth=2
	ds_read_b32 v14, v12
	ds_read_b32 v15, v13
	s_add_i32 s29, s29, -1
	v_add_u32_e32 v13, 4, v13
	v_add_u32_e32 v12, 4, v12
	s_cmp_lg_u32 s29, 0
	s_waitcnt lgkmcnt(0)
	v_fma_f32 v1, v14, v15, v1
	s_cbranch_scc1 .LBB2_26
	s_branch .LBB2_11
.LBB2_27:
	v_mov_b32_e32 v0, 0
	v_mov_b32_e32 v1, v0
.LBB2_28:
	s_and_b64 s[4:5], s[30:31], vcc
	s_and_saveexec_b64 s[6:7], s[4:5]
	s_cbranch_execz .LBB2_48
; %bb.29:
	s_mul_i32 s2, s3, s2
	v_add_u32_e32 v6, s2, v6
	s_load_dwordx2 s[2:3], s[0:1], 0x70
	v_ashrrev_i32_e32 v7, 31, v6
	s_cmp_lg_u32 s16, 1
	v_cmp_neq_f32_e64 s[0:1], s28, 0
	s_cselect_b64 s[4:5], -1, 0
	s_waitcnt lgkmcnt(0)
	v_mul_lo_u32 v3, s2, v7
	v_mul_lo_u32 v5, s3, v6
	v_mad_u64_u32 v[8:9], s[6:7], s2, v6, 0
	v_add3_u32 v9, v9, v3, v5
	v_lshl_add_u64 v[8:9], v[8:9], 2, s[36:37]
	v_lshl_add_u64 v[6:7], v[6:7], 2, s[36:37]
	v_cmp_gt_i32_e32 vcc, s15, v4
	s_and_saveexec_b64 s[6:7], vcc
	s_cbranch_execz .LBB2_41
; %bb.30:
	s_and_b64 vcc, exec, s[0:1]
	v_ashrrev_i32_e32 v5, 31, v4
	s_mov_b64 s[8:9], -1
	s_cbranch_vccz .LBB2_36
; %bb.31:
	s_and_b64 vcc, exec, s[4:5]
	s_cbranch_vccz .LBB2_33
; %bb.32:
	v_lshl_add_u64 v[10:11], v[4:5], 2, v[8:9]
	global_load_dword v3, v[10:11], off
	v_mul_f32_e32 v12, s18, v0
	s_mov_b64 s[8:9], 0
	s_waitcnt vmcnt(0)
	v_fmac_f32_e32 v12, s28, v3
	global_store_dword v[10:11], v12, off
.LBB2_33:
	s_andn2_b64 vcc, exec, s[8:9]
	s_cbranch_vccnz .LBB2_35
; %bb.34:
	v_mul_lo_u32 v3, s3, v4
	v_mul_lo_u32 v12, s2, v5
	v_mad_u64_u32 v[10:11], s[8:9], s2, v4, 0
	v_add3_u32 v11, v11, v12, v3
	v_lshl_add_u64 v[10:11], v[10:11], 2, v[6:7]
	global_load_dword v3, v[10:11], off
	v_mul_f32_e32 v12, s18, v0
	s_waitcnt vmcnt(0)
	v_fmac_f32_e32 v12, s28, v3
	global_store_dword v[10:11], v12, off
.LBB2_35:
	s_mov_b64 s[8:9], 0
.LBB2_36:
	s_andn2_b64 vcc, exec, s[8:9]
	s_cbranch_vccnz .LBB2_41
; %bb.37:
	v_mul_f32_e32 v0, s18, v0
	s_mov_b64 s[8:9], -1
	s_and_b64 vcc, exec, s[4:5]
	s_cbranch_vccz .LBB2_39
; %bb.38:
	v_lshl_add_u64 v[10:11], v[4:5], 2, v[8:9]
	global_store_dword v[10:11], v0, off
	s_mov_b64 s[8:9], 0
.LBB2_39:
	s_andn2_b64 vcc, exec, s[8:9]
	s_cbranch_vccnz .LBB2_41
; %bb.40:
	v_mul_lo_u32 v3, s3, v4
	v_mul_lo_u32 v10, s2, v5
	v_mad_u64_u32 v[4:5], s[8:9], s2, v4, 0
	v_add3_u32 v5, v5, v10, v3
	v_lshl_add_u64 v[4:5], v[4:5], 2, v[6:7]
	global_store_dword v[4:5], v0, off
.LBB2_41:
	s_or_b64 exec, exec, s[6:7]
	v_cmp_gt_i32_e32 vcc, s15, v2
	s_and_b64 exec, exec, vcc
	s_cbranch_execz .LBB2_48
; %bb.42:
	v_cndmask_b32_e64 v0, 0, 1, s[4:5]
	s_andn2_b64 vcc, exec, s[0:1]
	v_ashrrev_i32_e32 v3, 31, v2
	v_cmp_ne_u32_e64 s[0:1], 1, v0
	s_cbranch_vccnz .LBB2_49
; %bb.43:
	s_and_b64 vcc, exec, s[0:1]
	s_mov_b64 s[4:5], -1
	s_cbranch_vccnz .LBB2_45
; %bb.44:
	v_lshl_add_u64 v[4:5], v[2:3], 2, v[8:9]
	global_load_dword v0, v[4:5], off
	v_mul_f32_e32 v10, s18, v1
	s_mov_b64 s[4:5], 0
	s_waitcnt vmcnt(0)
	v_fmac_f32_e32 v10, s28, v0
	global_store_dword v[4:5], v10, off
.LBB2_45:
	s_andn2_b64 vcc, exec, s[4:5]
	s_cbranch_vccnz .LBB2_47
; %bb.46:
	v_mul_lo_u32 v0, s3, v2
	v_mul_lo_u32 v10, s2, v3
	v_mad_u64_u32 v[4:5], s[4:5], s2, v2, 0
	v_add3_u32 v5, v5, v10, v0
	v_lshl_add_u64 v[4:5], v[4:5], 2, v[6:7]
	global_load_dword v0, v[4:5], off
	v_mul_f32_e32 v10, s18, v1
	s_waitcnt vmcnt(0)
	v_fmac_f32_e32 v10, s28, v0
	global_store_dword v[4:5], v10, off
.LBB2_47:
	s_cbranch_execz .LBB2_50
.LBB2_48:
	s_endpgm
.LBB2_49:
.LBB2_50:
	v_mul_f32_e32 v0, s18, v1
	s_and_b64 vcc, exec, s[0:1]
	s_mov_b64 s[0:1], -1
	s_cbranch_vccnz .LBB2_52
; %bb.51:
	v_lshl_add_u64 v[4:5], v[2:3], 2, v[8:9]
	s_mov_b64 s[0:1], 0
	global_store_dword v[4:5], v0, off
.LBB2_52:
	s_andn2_b64 vcc, exec, s[0:1]
	s_cbranch_vccnz .LBB2_48
; %bb.53:
	v_mul_lo_u32 v1, s3, v2
	v_mul_lo_u32 v4, s2, v3
	v_mad_u64_u32 v[2:3], s[0:1], s2, v2, 0
	v_add3_u32 v3, v3, v4, v1
	v_lshl_add_u64 v[2:3], v[2:3], 2, v[6:7]
	global_store_dword v[2:3], v0, off
	s_endpgm
	.section	.rodata,"a",@progbits
	.p2align	6, 0x0
	.amdhsa_kernel _ZN9rocsparseL31bsrmm_large_blockdim_kernel_extILj16ELj16ELj2EiiffffEEvb20rocsparse_direction_T3_S2_llNS_24const_host_device_scalarIT7_EEPKT2_PKS2_PKT4_S2_PKT5_llS5_PT6_ll16rocsparse_order_21rocsparse_index_base_b
		.amdhsa_group_segment_fixed_size 3072
		.amdhsa_private_segment_fixed_size 0
		.amdhsa_kernarg_size 140
		.amdhsa_user_sgpr_count 2
		.amdhsa_user_sgpr_dispatch_ptr 0
		.amdhsa_user_sgpr_queue_ptr 0
		.amdhsa_user_sgpr_kernarg_segment_ptr 1
		.amdhsa_user_sgpr_dispatch_id 0
		.amdhsa_user_sgpr_kernarg_preload_length 0
		.amdhsa_user_sgpr_kernarg_preload_offset 0
		.amdhsa_user_sgpr_private_segment_size 0
		.amdhsa_uses_dynamic_stack 0
		.amdhsa_enable_private_segment 0
		.amdhsa_system_sgpr_workgroup_id_x 1
		.amdhsa_system_sgpr_workgroup_id_y 1
		.amdhsa_system_sgpr_workgroup_id_z 0
		.amdhsa_system_sgpr_workgroup_info 0
		.amdhsa_system_vgpr_workitem_id 1
		.amdhsa_next_free_vgpr 26
		.amdhsa_next_free_sgpr 40
		.amdhsa_accum_offset 28
		.amdhsa_reserve_vcc 1
		.amdhsa_float_round_mode_32 0
		.amdhsa_float_round_mode_16_64 0
		.amdhsa_float_denorm_mode_32 3
		.amdhsa_float_denorm_mode_16_64 3
		.amdhsa_dx10_clamp 1
		.amdhsa_ieee_mode 1
		.amdhsa_fp16_overflow 0
		.amdhsa_tg_split 0
		.amdhsa_exception_fp_ieee_invalid_op 0
		.amdhsa_exception_fp_denorm_src 0
		.amdhsa_exception_fp_ieee_div_zero 0
		.amdhsa_exception_fp_ieee_overflow 0
		.amdhsa_exception_fp_ieee_underflow 0
		.amdhsa_exception_fp_ieee_inexact 0
		.amdhsa_exception_int_div_zero 0
	.end_amdhsa_kernel
	.section	.text._ZN9rocsparseL31bsrmm_large_blockdim_kernel_extILj16ELj16ELj2EiiffffEEvb20rocsparse_direction_T3_S2_llNS_24const_host_device_scalarIT7_EEPKT2_PKS2_PKT4_S2_PKT5_llS5_PT6_ll16rocsparse_order_21rocsparse_index_base_b,"axG",@progbits,_ZN9rocsparseL31bsrmm_large_blockdim_kernel_extILj16ELj16ELj2EiiffffEEvb20rocsparse_direction_T3_S2_llNS_24const_host_device_scalarIT7_EEPKT2_PKS2_PKT4_S2_PKT5_llS5_PT6_ll16rocsparse_order_21rocsparse_index_base_b,comdat
.Lfunc_end2:
	.size	_ZN9rocsparseL31bsrmm_large_blockdim_kernel_extILj16ELj16ELj2EiiffffEEvb20rocsparse_direction_T3_S2_llNS_24const_host_device_scalarIT7_EEPKT2_PKS2_PKT4_S2_PKT5_llS5_PT6_ll16rocsparse_order_21rocsparse_index_base_b, .Lfunc_end2-_ZN9rocsparseL31bsrmm_large_blockdim_kernel_extILj16ELj16ELj2EiiffffEEvb20rocsparse_direction_T3_S2_llNS_24const_host_device_scalarIT7_EEPKT2_PKS2_PKT4_S2_PKT5_llS5_PT6_ll16rocsparse_order_21rocsparse_index_base_b
                                        ; -- End function
	.set _ZN9rocsparseL31bsrmm_large_blockdim_kernel_extILj16ELj16ELj2EiiffffEEvb20rocsparse_direction_T3_S2_llNS_24const_host_device_scalarIT7_EEPKT2_PKS2_PKT4_S2_PKT5_llS5_PT6_ll16rocsparse_order_21rocsparse_index_base_b.num_vgpr, 26
	.set _ZN9rocsparseL31bsrmm_large_blockdim_kernel_extILj16ELj16ELj2EiiffffEEvb20rocsparse_direction_T3_S2_llNS_24const_host_device_scalarIT7_EEPKT2_PKS2_PKT4_S2_PKT5_llS5_PT6_ll16rocsparse_order_21rocsparse_index_base_b.num_agpr, 0
	.set _ZN9rocsparseL31bsrmm_large_blockdim_kernel_extILj16ELj16ELj2EiiffffEEvb20rocsparse_direction_T3_S2_llNS_24const_host_device_scalarIT7_EEPKT2_PKS2_PKT4_S2_PKT5_llS5_PT6_ll16rocsparse_order_21rocsparse_index_base_b.numbered_sgpr, 40
	.set _ZN9rocsparseL31bsrmm_large_blockdim_kernel_extILj16ELj16ELj2EiiffffEEvb20rocsparse_direction_T3_S2_llNS_24const_host_device_scalarIT7_EEPKT2_PKS2_PKT4_S2_PKT5_llS5_PT6_ll16rocsparse_order_21rocsparse_index_base_b.num_named_barrier, 0
	.set _ZN9rocsparseL31bsrmm_large_blockdim_kernel_extILj16ELj16ELj2EiiffffEEvb20rocsparse_direction_T3_S2_llNS_24const_host_device_scalarIT7_EEPKT2_PKS2_PKT4_S2_PKT5_llS5_PT6_ll16rocsparse_order_21rocsparse_index_base_b.private_seg_size, 0
	.set _ZN9rocsparseL31bsrmm_large_blockdim_kernel_extILj16ELj16ELj2EiiffffEEvb20rocsparse_direction_T3_S2_llNS_24const_host_device_scalarIT7_EEPKT2_PKS2_PKT4_S2_PKT5_llS5_PT6_ll16rocsparse_order_21rocsparse_index_base_b.uses_vcc, 1
	.set _ZN9rocsparseL31bsrmm_large_blockdim_kernel_extILj16ELj16ELj2EiiffffEEvb20rocsparse_direction_T3_S2_llNS_24const_host_device_scalarIT7_EEPKT2_PKS2_PKT4_S2_PKT5_llS5_PT6_ll16rocsparse_order_21rocsparse_index_base_b.uses_flat_scratch, 0
	.set _ZN9rocsparseL31bsrmm_large_blockdim_kernel_extILj16ELj16ELj2EiiffffEEvb20rocsparse_direction_T3_S2_llNS_24const_host_device_scalarIT7_EEPKT2_PKS2_PKT4_S2_PKT5_llS5_PT6_ll16rocsparse_order_21rocsparse_index_base_b.has_dyn_sized_stack, 0
	.set _ZN9rocsparseL31bsrmm_large_blockdim_kernel_extILj16ELj16ELj2EiiffffEEvb20rocsparse_direction_T3_S2_llNS_24const_host_device_scalarIT7_EEPKT2_PKS2_PKT4_S2_PKT5_llS5_PT6_ll16rocsparse_order_21rocsparse_index_base_b.has_recursion, 0
	.set _ZN9rocsparseL31bsrmm_large_blockdim_kernel_extILj16ELj16ELj2EiiffffEEvb20rocsparse_direction_T3_S2_llNS_24const_host_device_scalarIT7_EEPKT2_PKS2_PKT4_S2_PKT5_llS5_PT6_ll16rocsparse_order_21rocsparse_index_base_b.has_indirect_call, 0
	.section	.AMDGPU.csdata,"",@progbits
; Kernel info:
; codeLenInByte = 1624
; TotalNumSgprs: 46
; NumVgprs: 26
; NumAgprs: 0
; TotalNumVgprs: 26
; ScratchSize: 0
; MemoryBound: 0
; FloatMode: 240
; IeeeMode: 1
; LDSByteSize: 3072 bytes/workgroup (compile time only)
; SGPRBlocks: 5
; VGPRBlocks: 3
; NumSGPRsForWavesPerEU: 46
; NumVGPRsForWavesPerEU: 26
; AccumOffset: 28
; Occupancy: 8
; WaveLimiterHint : 1
; COMPUTE_PGM_RSRC2:SCRATCH_EN: 0
; COMPUTE_PGM_RSRC2:USER_SGPR: 2
; COMPUTE_PGM_RSRC2:TRAP_HANDLER: 0
; COMPUTE_PGM_RSRC2:TGID_X_EN: 1
; COMPUTE_PGM_RSRC2:TGID_Y_EN: 1
; COMPUTE_PGM_RSRC2:TGID_Z_EN: 0
; COMPUTE_PGM_RSRC2:TIDIG_COMP_CNT: 1
; COMPUTE_PGM_RSRC3_GFX90A:ACCUM_OFFSET: 6
; COMPUTE_PGM_RSRC3_GFX90A:TG_SPLIT: 0
	.section	.text._ZN9rocsparseL31bsrmm_large_blockdim_kernel_extILj32ELj32ELj2EiiffffEEvb20rocsparse_direction_T3_S2_llNS_24const_host_device_scalarIT7_EEPKT2_PKS2_PKT4_S2_PKT5_llS5_PT6_ll16rocsparse_order_21rocsparse_index_base_b,"axG",@progbits,_ZN9rocsparseL31bsrmm_large_blockdim_kernel_extILj32ELj32ELj2EiiffffEEvb20rocsparse_direction_T3_S2_llNS_24const_host_device_scalarIT7_EEPKT2_PKS2_PKT4_S2_PKT5_llS5_PT6_ll16rocsparse_order_21rocsparse_index_base_b,comdat
	.globl	_ZN9rocsparseL31bsrmm_large_blockdim_kernel_extILj32ELj32ELj2EiiffffEEvb20rocsparse_direction_T3_S2_llNS_24const_host_device_scalarIT7_EEPKT2_PKS2_PKT4_S2_PKT5_llS5_PT6_ll16rocsparse_order_21rocsparse_index_base_b ; -- Begin function _ZN9rocsparseL31bsrmm_large_blockdim_kernel_extILj32ELj32ELj2EiiffffEEvb20rocsparse_direction_T3_S2_llNS_24const_host_device_scalarIT7_EEPKT2_PKS2_PKT4_S2_PKT5_llS5_PT6_ll16rocsparse_order_21rocsparse_index_base_b
	.p2align	8
	.type	_ZN9rocsparseL31bsrmm_large_blockdim_kernel_extILj32ELj32ELj2EiiffffEEvb20rocsparse_direction_T3_S2_llNS_24const_host_device_scalarIT7_EEPKT2_PKS2_PKT4_S2_PKT5_llS5_PT6_ll16rocsparse_order_21rocsparse_index_base_b,@function
_ZN9rocsparseL31bsrmm_large_blockdim_kernel_extILj32ELj32ELj2EiiffffEEvb20rocsparse_direction_T3_S2_llNS_24const_host_device_scalarIT7_EEPKT2_PKS2_PKT4_S2_PKT5_llS5_PT6_ll16rocsparse_order_21rocsparse_index_base_b: ; @_ZN9rocsparseL31bsrmm_large_blockdim_kernel_extILj32ELj32ELj2EiiffffEEvb20rocsparse_direction_T3_S2_llNS_24const_host_device_scalarIT7_EEPKT2_PKS2_PKT4_S2_PKT5_llS5_PT6_ll16rocsparse_order_21rocsparse_index_base_b
; %bb.0:
	s_load_dwordx4 s[16:19], s[0:1], 0x80
	s_mov_b32 s4, s3
	s_waitcnt lgkmcnt(0)
	s_bitcmp1_b32 s18, 0
	s_load_dwordx2 s[18:19], s[0:1], 0x20
	s_load_dwordx2 s[28:29], s[0:1], 0x60
	s_cselect_b64 s[8:9], -1, 0
	s_xor_b64 s[6:7], s[8:9], -1
	s_and_b64 vcc, exec, s[8:9]
	s_cbranch_vccnz .LBB3_2
; %bb.1:
	s_waitcnt lgkmcnt(0)
	s_load_dword s18, s[18:19], 0x0
.LBB3_2:
	s_andn2_b64 vcc, exec, s[6:7]
	s_cbranch_vccnz .LBB3_4
; %bb.3:
	s_waitcnt lgkmcnt(0)
	s_load_dword s28, s[28:29], 0x0
.LBB3_4:
	s_waitcnt lgkmcnt(0)
	v_cmp_eq_f32_e64 s[6:7], s18, 0
	v_cmp_eq_f32_e64 s[8:9], s28, 1.0
	s_and_b64 s[6:7], s[6:7], s[8:9]
	s_mov_b32 s34, 0
	s_and_b64 vcc, exec, s[6:7]
	s_cbranch_vccnz .LBB3_48
; %bb.5:
	s_load_dwordx4 s[12:15], s[0:1], 0x0
	s_load_dwordx2 s[6:7], s[0:1], 0x28
	s_waitcnt lgkmcnt(0)
	s_cmp_lt_i32 s2, s14
	s_cselect_b64 s[30:31], -1, 0
	s_cmp_ge_i32 s2, s14
	s_cbranch_scc1 .LBB3_7
; %bb.6:
	s_ashr_i32 s3, s2, 31
	s_lshl_b64 s[8:9], s[2:3], 2
	s_add_u32 s8, s6, s8
	s_addc_u32 s9, s7, s9
	s_load_dword s3, s[8:9], 0x0
	s_waitcnt lgkmcnt(0)
	s_sub_i32 s34, s3, s17
.LBB3_7:
	s_andn2_b64 vcc, exec, s[30:31]
	s_mov_b32 s14, 0
	s_cbranch_vccnz .LBB3_9
; %bb.8:
	s_ashr_i32 s3, s2, 31
	s_lshl_b64 s[8:9], s[2:3], 2
	s_add_u32 s6, s6, s8
	s_addc_u32 s7, s7, s9
	s_load_dword s3, s[6:7], 0x4
	s_waitcnt lgkmcnt(0)
	s_sub_i32 s14, s3, s17
.LBB3_9:
	s_load_dwordx2 s[36:37], s[0:1], 0x68
	s_load_dword s3, s[0:1], 0x40
	v_bfe_u32 v8, v0, 10, 10
	v_lshl_add_u32 v4, s4, 6, v8
	v_add_u32_e32 v2, 32, v4
	v_and_b32_e32 v6, 0x3ff, v0
	s_waitcnt lgkmcnt(0)
	v_cmp_gt_i32_e32 vcc, s3, v6
	s_cmp_ge_i32 s34, s14
	v_cmp_gt_i32_e64 s[4:5], s15, v4
	v_cmp_gt_i32_e64 s[6:7], s15, v2
	s_cbranch_scc1 .LBB3_27
; %bb.10:
	s_load_dwordx4 s[20:23], s[0:1], 0x30
	s_load_dwordx4 s[24:27], s[0:1], 0x48
	v_cmp_gt_i32_e64 s[8:9], s3, v8
	s_and_b64 s[38:39], vcc, s[8:9]
	v_mov_b32_e32 v0, 0x2000
	v_lshlrev_b32_e32 v7, 7, v8
	s_bitcmp1_b32 s12, 0
	v_lshl_or_b32 v14, v8, 2, v0
	v_mad_u64_u32 v[0:1], s[10:11], s3, v8, v[6:7]
	v_ashrrev_i32_e32 v5, 31, v4
	s_cselect_b64 s[8:9], -1, 0
	s_cmp_eq_u32 s13, 0
	v_mad_u64_u32 v[12:13], s[10:11], s3, v6, v[8:9]
	s_waitcnt lgkmcnt(0)
	v_mul_lo_u32 v1, s27, v4
	v_mul_lo_u32 v3, s26, v5
	v_mad_u64_u32 v[8:9], s[10:11], s26, v4, 0
	v_mad_u64_u32 v[10:11], s[10:11], s26, v2, 0
	v_add3_u32 v9, v9, v3, v1
	v_ashrrev_i32_e32 v3, 31, v2
	s_cselect_b64 s[10:11], -1, 0
	v_lshlrev_b32_e32 v15, 2, v6
	v_lshlrev_b32_e32 v20, 7, v6
	v_mul_lo_u32 v1, s27, v2
	v_mul_lo_u32 v13, s26, v3
	v_cndmask_b32_e64 v16, v0, v12, s[10:11]
	v_mov_b32_e32 v0, 0
	s_mul_i32 s19, s3, s3
	v_add3_u32 v11, v11, v13, v1
	v_add_u32_e32 v17, 0x2000, v20
	v_add_u32_e32 v18, 0x1000, v7
	v_mov_b32_e32 v1, v0
	v_add_u32_e32 v19, v15, v7
	v_add_u32_e32 v20, v14, v20
	s_branch .LBB3_13
.LBB3_11:                               ;   in Loop: Header=BB3_13 Depth=1
	s_or_b64 exec, exec, s[12:13]
.LBB3_12:                               ;   in Loop: Header=BB3_13 Depth=1
	s_or_b64 exec, exec, s[10:11]
	s_add_i32 s34, s34, 1
	s_cmp_ge_i32 s34, s14
	s_barrier
	s_cbranch_scc1 .LBB3_28
.LBB3_13:                               ; =>This Loop Header: Depth=1
                                        ;     Child Loop BB3_23 Depth 2
                                        ;     Child Loop BB3_26 Depth 2
	s_and_saveexec_b64 s[10:11], vcc
	s_cbranch_execz .LBB3_18
; %bb.14:                               ;   in Loop: Header=BB3_13 Depth=1
	s_ashr_i32 s35, s34, 31
	s_lshl_b64 s[12:13], s[34:35], 2
	s_add_u32 s12, s20, s12
	s_addc_u32 s13, s21, s13
	s_load_dword s12, s[12:13], 0x0
	s_waitcnt lgkmcnt(0)
	s_sub_i32 s12, s12, s17
	s_mul_i32 s12, s12, s3
	v_add_u32_e32 v14, s12, v6
	v_ashrrev_i32_e32 v15, 31, v14
	v_mul_lo_u32 v21, s27, v14
	v_mad_u64_u32 v[12:13], s[12:13], s26, v14, 0
	v_mul_lo_u32 v22, s26, v15
	v_add3_u32 v13, v13, v22, v21
	v_lshl_add_u64 v[12:13], v[12:13], 2, s[24:25]
	v_lshl_add_u64 v[14:15], v[14:15], 2, s[24:25]
	s_and_saveexec_b64 s[12:13], s[4:5]
	s_cbranch_execz .LBB3_16
; %bb.15:                               ;   in Loop: Header=BB3_13 Depth=1
	v_lshl_add_u64 v[22:23], v[4:5], 2, v[12:13]
	v_lshl_add_u64 v[24:25], v[8:9], 2, v[14:15]
	v_cndmask_b32_e64 v23, v23, v25, s[8:9]
	v_cndmask_b32_e64 v22, v22, v24, s[8:9]
	global_load_dword v21, v[22:23], off
	s_waitcnt vmcnt(0)
	ds_write_b32 v19, v21
.LBB3_16:                               ;   in Loop: Header=BB3_13 Depth=1
	s_or_b64 exec, exec, s[12:13]
	s_and_b64 exec, exec, s[6:7]
	s_cbranch_execz .LBB3_18
; %bb.17:                               ;   in Loop: Header=BB3_13 Depth=1
	v_lshl_add_u64 v[14:15], v[10:11], 2, v[14:15]
	v_lshl_add_u64 v[12:13], v[2:3], 2, v[12:13]
	v_cndmask_b32_e64 v13, v13, v15, s[8:9]
	v_cndmask_b32_e64 v12, v12, v14, s[8:9]
	global_load_dword v12, v[12:13], off
	s_waitcnt vmcnt(0)
	ds_write_b32 v19, v12 offset:4096
.LBB3_18:                               ;   in Loop: Header=BB3_13 Depth=1
	s_or_b64 exec, exec, s[10:11]
	s_and_saveexec_b64 s[10:11], s[38:39]
	s_cbranch_execz .LBB3_20
; %bb.19:                               ;   in Loop: Header=BB3_13 Depth=1
	s_mul_i32 s12, s19, s34
	v_add_u32_e32 v12, s12, v16
	v_ashrrev_i32_e32 v13, 31, v12
	v_lshl_add_u64 v[12:13], v[12:13], 2, s[22:23]
	global_load_dword v12, v[12:13], off
	s_waitcnt vmcnt(0)
	ds_write_b32 v20, v12
.LBB3_20:                               ;   in Loop: Header=BB3_13 Depth=1
	s_or_b64 exec, exec, s[10:11]
	s_waitcnt lgkmcnt(0)
	s_barrier
	s_and_saveexec_b64 s[10:11], vcc
	s_cbranch_execz .LBB3_12
; %bb.21:                               ;   in Loop: Header=BB3_13 Depth=1
	s_and_saveexec_b64 s[12:13], s[4:5]
	s_cbranch_execz .LBB3_24
; %bb.22:                               ;   in Loop: Header=BB3_13 Depth=1
	v_mov_b32_e32 v12, v17
	v_mov_b32_e32 v13, v7
	s_mov_b32 s29, s3
.LBB3_23:                               ;   Parent Loop BB3_13 Depth=1
                                        ; =>  This Inner Loop Header: Depth=2
	ds_read_b32 v14, v12
	ds_read_b32 v15, v13
	s_add_i32 s29, s29, -1
	v_add_u32_e32 v13, 4, v13
	v_add_u32_e32 v12, 4, v12
	s_cmp_lg_u32 s29, 0
	s_waitcnt lgkmcnt(0)
	v_fma_f32 v0, v14, v15, v0
	s_cbranch_scc1 .LBB3_23
.LBB3_24:                               ;   in Loop: Header=BB3_13 Depth=1
	s_or_b64 exec, exec, s[12:13]
	s_and_saveexec_b64 s[12:13], s[6:7]
	s_cbranch_execz .LBB3_11
; %bb.25:                               ;   in Loop: Header=BB3_13 Depth=1
	v_mov_b32_e32 v12, v17
	s_mov_b32 s29, s3
	v_mov_b32_e32 v13, v18
.LBB3_26:                               ;   Parent Loop BB3_13 Depth=1
                                        ; =>  This Inner Loop Header: Depth=2
	ds_read_b32 v14, v12
	ds_read_b32 v15, v13
	s_add_i32 s29, s29, -1
	v_add_u32_e32 v13, 4, v13
	v_add_u32_e32 v12, 4, v12
	s_cmp_lg_u32 s29, 0
	s_waitcnt lgkmcnt(0)
	v_fma_f32 v1, v14, v15, v1
	s_cbranch_scc1 .LBB3_26
	s_branch .LBB3_11
.LBB3_27:
	v_mov_b32_e32 v0, 0
	v_mov_b32_e32 v1, v0
.LBB3_28:
	s_and_b64 s[4:5], s[30:31], vcc
	s_and_saveexec_b64 s[6:7], s[4:5]
	s_cbranch_execz .LBB3_48
; %bb.29:
	s_mul_i32 s2, s3, s2
	v_add_u32_e32 v6, s2, v6
	s_load_dwordx2 s[2:3], s[0:1], 0x70
	v_ashrrev_i32_e32 v7, 31, v6
	s_cmp_lg_u32 s16, 1
	v_cmp_neq_f32_e64 s[0:1], s28, 0
	s_cselect_b64 s[4:5], -1, 0
	s_waitcnt lgkmcnt(0)
	v_mul_lo_u32 v3, s2, v7
	v_mul_lo_u32 v5, s3, v6
	v_mad_u64_u32 v[8:9], s[6:7], s2, v6, 0
	v_add3_u32 v9, v9, v3, v5
	v_lshl_add_u64 v[8:9], v[8:9], 2, s[36:37]
	v_lshl_add_u64 v[6:7], v[6:7], 2, s[36:37]
	v_cmp_gt_i32_e32 vcc, s15, v4
	s_and_saveexec_b64 s[6:7], vcc
	s_cbranch_execz .LBB3_41
; %bb.30:
	s_and_b64 vcc, exec, s[0:1]
	v_ashrrev_i32_e32 v5, 31, v4
	s_mov_b64 s[8:9], -1
	s_cbranch_vccz .LBB3_36
; %bb.31:
	s_and_b64 vcc, exec, s[4:5]
	s_cbranch_vccz .LBB3_33
; %bb.32:
	v_lshl_add_u64 v[10:11], v[4:5], 2, v[8:9]
	global_load_dword v3, v[10:11], off
	v_mul_f32_e32 v12, s18, v0
	s_mov_b64 s[8:9], 0
	s_waitcnt vmcnt(0)
	v_fmac_f32_e32 v12, s28, v3
	global_store_dword v[10:11], v12, off
.LBB3_33:
	s_andn2_b64 vcc, exec, s[8:9]
	s_cbranch_vccnz .LBB3_35
; %bb.34:
	v_mul_lo_u32 v3, s3, v4
	v_mul_lo_u32 v12, s2, v5
	v_mad_u64_u32 v[10:11], s[8:9], s2, v4, 0
	v_add3_u32 v11, v11, v12, v3
	v_lshl_add_u64 v[10:11], v[10:11], 2, v[6:7]
	global_load_dword v3, v[10:11], off
	v_mul_f32_e32 v12, s18, v0
	s_waitcnt vmcnt(0)
	v_fmac_f32_e32 v12, s28, v3
	global_store_dword v[10:11], v12, off
.LBB3_35:
	s_mov_b64 s[8:9], 0
.LBB3_36:
	s_andn2_b64 vcc, exec, s[8:9]
	s_cbranch_vccnz .LBB3_41
; %bb.37:
	v_mul_f32_e32 v0, s18, v0
	s_mov_b64 s[8:9], -1
	s_and_b64 vcc, exec, s[4:5]
	s_cbranch_vccz .LBB3_39
; %bb.38:
	v_lshl_add_u64 v[10:11], v[4:5], 2, v[8:9]
	global_store_dword v[10:11], v0, off
	s_mov_b64 s[8:9], 0
.LBB3_39:
	s_andn2_b64 vcc, exec, s[8:9]
	s_cbranch_vccnz .LBB3_41
; %bb.40:
	v_mul_lo_u32 v3, s3, v4
	v_mul_lo_u32 v10, s2, v5
	v_mad_u64_u32 v[4:5], s[8:9], s2, v4, 0
	v_add3_u32 v5, v5, v10, v3
	v_lshl_add_u64 v[4:5], v[4:5], 2, v[6:7]
	global_store_dword v[4:5], v0, off
.LBB3_41:
	s_or_b64 exec, exec, s[6:7]
	v_cmp_gt_i32_e32 vcc, s15, v2
	s_and_b64 exec, exec, vcc
	s_cbranch_execz .LBB3_48
; %bb.42:
	v_cndmask_b32_e64 v0, 0, 1, s[4:5]
	s_andn2_b64 vcc, exec, s[0:1]
	v_ashrrev_i32_e32 v3, 31, v2
	v_cmp_ne_u32_e64 s[0:1], 1, v0
	s_cbranch_vccnz .LBB3_49
; %bb.43:
	s_and_b64 vcc, exec, s[0:1]
	s_mov_b64 s[4:5], -1
	s_cbranch_vccnz .LBB3_45
; %bb.44:
	v_lshl_add_u64 v[4:5], v[2:3], 2, v[8:9]
	global_load_dword v0, v[4:5], off
	v_mul_f32_e32 v10, s18, v1
	s_mov_b64 s[4:5], 0
	s_waitcnt vmcnt(0)
	v_fmac_f32_e32 v10, s28, v0
	global_store_dword v[4:5], v10, off
.LBB3_45:
	s_andn2_b64 vcc, exec, s[4:5]
	s_cbranch_vccnz .LBB3_47
; %bb.46:
	v_mul_lo_u32 v0, s3, v2
	v_mul_lo_u32 v10, s2, v3
	v_mad_u64_u32 v[4:5], s[4:5], s2, v2, 0
	v_add3_u32 v5, v5, v10, v0
	v_lshl_add_u64 v[4:5], v[4:5], 2, v[6:7]
	global_load_dword v0, v[4:5], off
	v_mul_f32_e32 v10, s18, v1
	s_waitcnt vmcnt(0)
	v_fmac_f32_e32 v10, s28, v0
	global_store_dword v[4:5], v10, off
.LBB3_47:
	s_cbranch_execz .LBB3_50
.LBB3_48:
	s_endpgm
.LBB3_49:
.LBB3_50:
	v_mul_f32_e32 v0, s18, v1
	s_and_b64 vcc, exec, s[0:1]
	s_mov_b64 s[0:1], -1
	s_cbranch_vccnz .LBB3_52
; %bb.51:
	v_lshl_add_u64 v[4:5], v[2:3], 2, v[8:9]
	s_mov_b64 s[0:1], 0
	global_store_dword v[4:5], v0, off
.LBB3_52:
	s_andn2_b64 vcc, exec, s[0:1]
	s_cbranch_vccnz .LBB3_48
; %bb.53:
	v_mul_lo_u32 v1, s3, v2
	v_mul_lo_u32 v4, s2, v3
	v_mad_u64_u32 v[2:3], s[0:1], s2, v2, 0
	v_add3_u32 v3, v3, v4, v1
	v_lshl_add_u64 v[2:3], v[2:3], 2, v[6:7]
	global_store_dword v[2:3], v0, off
	s_endpgm
	.section	.rodata,"a",@progbits
	.p2align	6, 0x0
	.amdhsa_kernel _ZN9rocsparseL31bsrmm_large_blockdim_kernel_extILj32ELj32ELj2EiiffffEEvb20rocsparse_direction_T3_S2_llNS_24const_host_device_scalarIT7_EEPKT2_PKS2_PKT4_S2_PKT5_llS5_PT6_ll16rocsparse_order_21rocsparse_index_base_b
		.amdhsa_group_segment_fixed_size 12288
		.amdhsa_private_segment_fixed_size 0
		.amdhsa_kernarg_size 140
		.amdhsa_user_sgpr_count 2
		.amdhsa_user_sgpr_dispatch_ptr 0
		.amdhsa_user_sgpr_queue_ptr 0
		.amdhsa_user_sgpr_kernarg_segment_ptr 1
		.amdhsa_user_sgpr_dispatch_id 0
		.amdhsa_user_sgpr_kernarg_preload_length 0
		.amdhsa_user_sgpr_kernarg_preload_offset 0
		.amdhsa_user_sgpr_private_segment_size 0
		.amdhsa_uses_dynamic_stack 0
		.amdhsa_enable_private_segment 0
		.amdhsa_system_sgpr_workgroup_id_x 1
		.amdhsa_system_sgpr_workgroup_id_y 1
		.amdhsa_system_sgpr_workgroup_id_z 0
		.amdhsa_system_sgpr_workgroup_info 0
		.amdhsa_system_vgpr_workitem_id 1
		.amdhsa_next_free_vgpr 26
		.amdhsa_next_free_sgpr 40
		.amdhsa_accum_offset 28
		.amdhsa_reserve_vcc 1
		.amdhsa_float_round_mode_32 0
		.amdhsa_float_round_mode_16_64 0
		.amdhsa_float_denorm_mode_32 3
		.amdhsa_float_denorm_mode_16_64 3
		.amdhsa_dx10_clamp 1
		.amdhsa_ieee_mode 1
		.amdhsa_fp16_overflow 0
		.amdhsa_tg_split 0
		.amdhsa_exception_fp_ieee_invalid_op 0
		.amdhsa_exception_fp_denorm_src 0
		.amdhsa_exception_fp_ieee_div_zero 0
		.amdhsa_exception_fp_ieee_overflow 0
		.amdhsa_exception_fp_ieee_underflow 0
		.amdhsa_exception_fp_ieee_inexact 0
		.amdhsa_exception_int_div_zero 0
	.end_amdhsa_kernel
	.section	.text._ZN9rocsparseL31bsrmm_large_blockdim_kernel_extILj32ELj32ELj2EiiffffEEvb20rocsparse_direction_T3_S2_llNS_24const_host_device_scalarIT7_EEPKT2_PKS2_PKT4_S2_PKT5_llS5_PT6_ll16rocsparse_order_21rocsparse_index_base_b,"axG",@progbits,_ZN9rocsparseL31bsrmm_large_blockdim_kernel_extILj32ELj32ELj2EiiffffEEvb20rocsparse_direction_T3_S2_llNS_24const_host_device_scalarIT7_EEPKT2_PKS2_PKT4_S2_PKT5_llS5_PT6_ll16rocsparse_order_21rocsparse_index_base_b,comdat
.Lfunc_end3:
	.size	_ZN9rocsparseL31bsrmm_large_blockdim_kernel_extILj32ELj32ELj2EiiffffEEvb20rocsparse_direction_T3_S2_llNS_24const_host_device_scalarIT7_EEPKT2_PKS2_PKT4_S2_PKT5_llS5_PT6_ll16rocsparse_order_21rocsparse_index_base_b, .Lfunc_end3-_ZN9rocsparseL31bsrmm_large_blockdim_kernel_extILj32ELj32ELj2EiiffffEEvb20rocsparse_direction_T3_S2_llNS_24const_host_device_scalarIT7_EEPKT2_PKS2_PKT4_S2_PKT5_llS5_PT6_ll16rocsparse_order_21rocsparse_index_base_b
                                        ; -- End function
	.set _ZN9rocsparseL31bsrmm_large_blockdim_kernel_extILj32ELj32ELj2EiiffffEEvb20rocsparse_direction_T3_S2_llNS_24const_host_device_scalarIT7_EEPKT2_PKS2_PKT4_S2_PKT5_llS5_PT6_ll16rocsparse_order_21rocsparse_index_base_b.num_vgpr, 26
	.set _ZN9rocsparseL31bsrmm_large_blockdim_kernel_extILj32ELj32ELj2EiiffffEEvb20rocsparse_direction_T3_S2_llNS_24const_host_device_scalarIT7_EEPKT2_PKS2_PKT4_S2_PKT5_llS5_PT6_ll16rocsparse_order_21rocsparse_index_base_b.num_agpr, 0
	.set _ZN9rocsparseL31bsrmm_large_blockdim_kernel_extILj32ELj32ELj2EiiffffEEvb20rocsparse_direction_T3_S2_llNS_24const_host_device_scalarIT7_EEPKT2_PKS2_PKT4_S2_PKT5_llS5_PT6_ll16rocsparse_order_21rocsparse_index_base_b.numbered_sgpr, 40
	.set _ZN9rocsparseL31bsrmm_large_blockdim_kernel_extILj32ELj32ELj2EiiffffEEvb20rocsparse_direction_T3_S2_llNS_24const_host_device_scalarIT7_EEPKT2_PKS2_PKT4_S2_PKT5_llS5_PT6_ll16rocsparse_order_21rocsparse_index_base_b.num_named_barrier, 0
	.set _ZN9rocsparseL31bsrmm_large_blockdim_kernel_extILj32ELj32ELj2EiiffffEEvb20rocsparse_direction_T3_S2_llNS_24const_host_device_scalarIT7_EEPKT2_PKS2_PKT4_S2_PKT5_llS5_PT6_ll16rocsparse_order_21rocsparse_index_base_b.private_seg_size, 0
	.set _ZN9rocsparseL31bsrmm_large_blockdim_kernel_extILj32ELj32ELj2EiiffffEEvb20rocsparse_direction_T3_S2_llNS_24const_host_device_scalarIT7_EEPKT2_PKS2_PKT4_S2_PKT5_llS5_PT6_ll16rocsparse_order_21rocsparse_index_base_b.uses_vcc, 1
	.set _ZN9rocsparseL31bsrmm_large_blockdim_kernel_extILj32ELj32ELj2EiiffffEEvb20rocsparse_direction_T3_S2_llNS_24const_host_device_scalarIT7_EEPKT2_PKS2_PKT4_S2_PKT5_llS5_PT6_ll16rocsparse_order_21rocsparse_index_base_b.uses_flat_scratch, 0
	.set _ZN9rocsparseL31bsrmm_large_blockdim_kernel_extILj32ELj32ELj2EiiffffEEvb20rocsparse_direction_T3_S2_llNS_24const_host_device_scalarIT7_EEPKT2_PKS2_PKT4_S2_PKT5_llS5_PT6_ll16rocsparse_order_21rocsparse_index_base_b.has_dyn_sized_stack, 0
	.set _ZN9rocsparseL31bsrmm_large_blockdim_kernel_extILj32ELj32ELj2EiiffffEEvb20rocsparse_direction_T3_S2_llNS_24const_host_device_scalarIT7_EEPKT2_PKS2_PKT4_S2_PKT5_llS5_PT6_ll16rocsparse_order_21rocsparse_index_base_b.has_recursion, 0
	.set _ZN9rocsparseL31bsrmm_large_blockdim_kernel_extILj32ELj32ELj2EiiffffEEvb20rocsparse_direction_T3_S2_llNS_24const_host_device_scalarIT7_EEPKT2_PKS2_PKT4_S2_PKT5_llS5_PT6_ll16rocsparse_order_21rocsparse_index_base_b.has_indirect_call, 0
	.section	.AMDGPU.csdata,"",@progbits
; Kernel info:
; codeLenInByte = 1624
; TotalNumSgprs: 46
; NumVgprs: 26
; NumAgprs: 0
; TotalNumVgprs: 26
; ScratchSize: 0
; MemoryBound: 0
; FloatMode: 240
; IeeeMode: 1
; LDSByteSize: 12288 bytes/workgroup (compile time only)
; SGPRBlocks: 5
; VGPRBlocks: 3
; NumSGPRsForWavesPerEU: 46
; NumVGPRsForWavesPerEU: 26
; AccumOffset: 28
; Occupancy: 8
; WaveLimiterHint : 1
; COMPUTE_PGM_RSRC2:SCRATCH_EN: 0
; COMPUTE_PGM_RSRC2:USER_SGPR: 2
; COMPUTE_PGM_RSRC2:TRAP_HANDLER: 0
; COMPUTE_PGM_RSRC2:TGID_X_EN: 1
; COMPUTE_PGM_RSRC2:TGID_Y_EN: 1
; COMPUTE_PGM_RSRC2:TGID_Z_EN: 0
; COMPUTE_PGM_RSRC2:TIDIG_COMP_CNT: 1
; COMPUTE_PGM_RSRC3_GFX90A:ACCUM_OFFSET: 6
; COMPUTE_PGM_RSRC3_GFX90A:TG_SPLIT: 0
	.section	.text._ZN9rocsparseL31bsrmm_large_blockdim_kernel_extILj8ELj8ELj2EliffffEEvb20rocsparse_direction_T3_S2_llNS_24const_host_device_scalarIT7_EEPKT2_PKS2_PKT4_S2_PKT5_llS5_PT6_ll16rocsparse_order_21rocsparse_index_base_b,"axG",@progbits,_ZN9rocsparseL31bsrmm_large_blockdim_kernel_extILj8ELj8ELj2EliffffEEvb20rocsparse_direction_T3_S2_llNS_24const_host_device_scalarIT7_EEPKT2_PKS2_PKT4_S2_PKT5_llS5_PT6_ll16rocsparse_order_21rocsparse_index_base_b,comdat
	.globl	_ZN9rocsparseL31bsrmm_large_blockdim_kernel_extILj8ELj8ELj2EliffffEEvb20rocsparse_direction_T3_S2_llNS_24const_host_device_scalarIT7_EEPKT2_PKS2_PKT4_S2_PKT5_llS5_PT6_ll16rocsparse_order_21rocsparse_index_base_b ; -- Begin function _ZN9rocsparseL31bsrmm_large_blockdim_kernel_extILj8ELj8ELj2EliffffEEvb20rocsparse_direction_T3_S2_llNS_24const_host_device_scalarIT7_EEPKT2_PKS2_PKT4_S2_PKT5_llS5_PT6_ll16rocsparse_order_21rocsparse_index_base_b
	.p2align	8
	.type	_ZN9rocsparseL31bsrmm_large_blockdim_kernel_extILj8ELj8ELj2EliffffEEvb20rocsparse_direction_T3_S2_llNS_24const_host_device_scalarIT7_EEPKT2_PKS2_PKT4_S2_PKT5_llS5_PT6_ll16rocsparse_order_21rocsparse_index_base_b,@function
_ZN9rocsparseL31bsrmm_large_blockdim_kernel_extILj8ELj8ELj2EliffffEEvb20rocsparse_direction_T3_S2_llNS_24const_host_device_scalarIT7_EEPKT2_PKS2_PKT4_S2_PKT5_llS5_PT6_ll16rocsparse_order_21rocsparse_index_base_b: ; @_ZN9rocsparseL31bsrmm_large_blockdim_kernel_extILj8ELj8ELj2EliffffEEvb20rocsparse_direction_T3_S2_llNS_24const_host_device_scalarIT7_EEPKT2_PKS2_PKT4_S2_PKT5_llS5_PT6_ll16rocsparse_order_21rocsparse_index_base_b
; %bb.0:
	s_load_dwordx4 s[16:19], s[0:1], 0x80
	s_mov_b32 s4, s3
	s_waitcnt lgkmcnt(0)
	s_bitcmp1_b32 s18, 0
	s_load_dwordx2 s[18:19], s[0:1], 0x20
	s_load_dwordx2 s[28:29], s[0:1], 0x60
	s_cselect_b64 s[8:9], -1, 0
	s_xor_b64 s[6:7], s[8:9], -1
	s_and_b64 vcc, exec, s[8:9]
	s_cbranch_vccnz .LBB4_2
; %bb.1:
	s_waitcnt lgkmcnt(0)
	s_load_dword s18, s[18:19], 0x0
.LBB4_2:
	s_andn2_b64 vcc, exec, s[6:7]
	s_cbranch_vccnz .LBB4_4
; %bb.3:
	s_waitcnt lgkmcnt(0)
	s_load_dword s28, s[28:29], 0x0
.LBB4_4:
	s_waitcnt lgkmcnt(0)
	v_cmp_eq_f32_e64 s[6:7], s18, 0
	v_cmp_eq_f32_e64 s[8:9], s28, 1.0
	s_and_b64 s[6:7], s[6:7], s[8:9]
	s_and_b64 vcc, exec, s[6:7]
	s_cbranch_vccnz .LBB4_48
; %bb.5:
	s_load_dwordx4 s[12:15], s[0:1], 0x0
	s_load_dwordx2 s[6:7], s[0:1], 0x28
	s_mov_b64 s[34:35], 0
	s_mov_b64 s[38:39], 0
	s_waitcnt lgkmcnt(0)
	s_cmp_lt_i32 s2, s14
	s_cselect_b64 s[30:31], -1, 0
	s_cmp_ge_i32 s2, s14
	s_cbranch_scc1 .LBB4_7
; %bb.6:
	s_ashr_i32 s3, s2, 31
	s_lshl_b64 s[8:9], s[2:3], 3
	s_add_u32 s8, s6, s8
	s_addc_u32 s9, s7, s9
	s_load_dwordx2 s[8:9], s[8:9], 0x0
	s_waitcnt lgkmcnt(0)
	s_sub_u32 s38, s8, s17
	s_subb_u32 s39, s9, 0
.LBB4_7:
	s_andn2_b64 vcc, exec, s[30:31]
	s_cbranch_vccnz .LBB4_9
; %bb.8:
	s_ashr_i32 s3, s2, 31
	s_lshl_b64 s[8:9], s[2:3], 3
	s_add_u32 s6, s6, s8
	s_addc_u32 s7, s7, s9
	s_load_dwordx2 s[6:7], s[6:7], 0x8
	s_waitcnt lgkmcnt(0)
	s_sub_u32 s34, s6, s17
	s_subb_u32 s35, s7, 0
.LBB4_9:
	s_load_dwordx2 s[36:37], s[0:1], 0x68
	s_load_dword s3, s[0:1], 0x40
	v_bfe_u32 v1, v0, 10, 10
	v_lshl_add_u32 v4, s4, 4, v1
	v_mov_b64_e32 v[6:7], s[34:35]
	v_add_u32_e32 v2, 8, v4
	v_and_b32_e32 v16, 0x3ff, v0
	v_cmp_ge_i64_e32 vcc, s[38:39], v[6:7]
	s_waitcnt lgkmcnt(0)
	v_cmp_gt_i32_e64 s[4:5], s3, v16
	v_cmp_gt_i32_e64 s[6:7], s15, v4
	;; [unrolled: 1-line block ×3, first 2 shown]
	s_cbranch_vccnz .LBB4_27
; %bb.10:
	s_load_dwordx4 s[20:23], s[0:1], 0x30
	s_load_dwordx4 s[24:27], s[0:1], 0x48
	v_cmp_gt_i32_e32 vcc, s3, v1
	v_lshlrev_b32_e32 v6, 2, v1
	v_lshlrev_b32_e32 v17, 5, v1
	v_mul_lo_u32 v0, s3, v1
	v_mov_b32_e32 v1, 0
	s_and_b64 s[40:41], s[4:5], vcc
	v_lshlrev_b32_e32 v12, 2, v16
	s_waitcnt lgkmcnt(0)
	v_lshl_add_u64 v[8:9], v[0:1], 2, s[22:23]
	v_mov_b32_e32 v13, v1
	v_mul_lo_u32 v0, s3, v16
	s_bitcmp1_b32 s12, 0
	v_lshl_add_u64 v[10:11], v[8:9], 0, v[12:13]
	v_lshl_add_u64 v[8:9], v[0:1], 2, s[22:23]
	v_mov_b32_e32 v7, v1
	v_ashrrev_i32_e32 v5, 31, v4
	s_cselect_b64 s[10:11], -1, 0
	v_add_u32_e32 v20, 0x200, v6
	s_cmp_eq_u32 s13, 0
	v_lshl_add_u64 v[14:15], v[8:9], 0, v[6:7]
	v_mul_lo_u32 v0, s27, v4
	v_mul_lo_u32 v3, s26, v5
	v_mad_u64_u32 v[6:7], s[12:13], s26, v4, 0
	v_add3_u32 v7, v7, v3, v0
	v_ashrrev_i32_e32 v3, 31, v2
	v_lshlrev_b32_e32 v13, 5, v16
	v_mul_lo_u32 v0, s27, v2
	v_mul_lo_u32 v18, s26, v3
	v_mad_u64_u32 v[8:9], s[12:13], s26, v2, 0
	s_cselect_b64 vcc, -1, 0
	s_mul_i32 s14, s3, s3
	v_add3_u32 v9, v9, v18, v0
	v_cndmask_b32_e32 v11, v11, v15, vcc
	v_cndmask_b32_e32 v10, v10, v14, vcc
	v_add_u32_e32 v18, 0x200, v13
	v_add_u32_e32 v19, 0x100, v17
	v_mov_b32_e32 v0, v1
	v_add_u32_e32 v20, v20, v13
	v_add_u32_e32 v21, v12, v17
	s_branch .LBB4_13
.LBB4_11:                               ;   in Loop: Header=BB4_13 Depth=1
	s_or_b64 exec, exec, s[22:23]
.LBB4_12:                               ;   in Loop: Header=BB4_13 Depth=1
	s_or_b64 exec, exec, s[12:13]
	s_add_u32 s38, s38, 1
	s_addc_u32 s39, s39, 0
	v_mov_b64_e32 v[12:13], s[34:35]
	v_cmp_ge_i64_e32 vcc, s[38:39], v[12:13]
	; wave barrier
	s_cbranch_vccnz .LBB4_28
.LBB4_13:                               ; =>This Loop Header: Depth=1
                                        ;     Child Loop BB4_23 Depth 2
                                        ;     Child Loop BB4_26 Depth 2
	s_and_saveexec_b64 s[12:13], s[4:5]
	s_cbranch_execz .LBB4_18
; %bb.14:                               ;   in Loop: Header=BB4_13 Depth=1
	s_lshl_b64 s[22:23], s[38:39], 2
	s_add_u32 s22, s20, s22
	s_addc_u32 s23, s21, s23
	s_load_dword s19, s[22:23], 0x0
	s_waitcnt lgkmcnt(0)
	s_sub_i32 s19, s19, s17
	s_mul_i32 s19, s19, s3
	v_add_u32_e32 v14, s19, v16
	v_ashrrev_i32_e32 v15, 31, v14
	v_mul_lo_u32 v22, s27, v14
	v_mad_u64_u32 v[12:13], s[22:23], s26, v14, 0
	v_mul_lo_u32 v23, s26, v15
	v_add3_u32 v13, v13, v23, v22
	v_lshl_add_u64 v[12:13], v[12:13], 2, s[24:25]
	v_lshl_add_u64 v[14:15], v[14:15], 2, s[24:25]
	s_and_saveexec_b64 s[22:23], s[6:7]
	s_cbranch_execz .LBB4_16
; %bb.15:                               ;   in Loop: Header=BB4_13 Depth=1
	v_lshl_add_u64 v[22:23], v[4:5], 2, v[12:13]
	v_lshl_add_u64 v[24:25], v[6:7], 2, v[14:15]
	v_cndmask_b32_e64 v23, v23, v25, s[10:11]
	v_cndmask_b32_e64 v22, v22, v24, s[10:11]
	global_load_dword v22, v[22:23], off
	s_waitcnt vmcnt(0)
	ds_write_b32 v21, v22
.LBB4_16:                               ;   in Loop: Header=BB4_13 Depth=1
	s_or_b64 exec, exec, s[22:23]
	s_and_b64 exec, exec, s[8:9]
	s_cbranch_execz .LBB4_18
; %bb.17:                               ;   in Loop: Header=BB4_13 Depth=1
	v_lshl_add_u64 v[14:15], v[8:9], 2, v[14:15]
	v_lshl_add_u64 v[12:13], v[2:3], 2, v[12:13]
	v_cndmask_b32_e64 v13, v13, v15, s[10:11]
	v_cndmask_b32_e64 v12, v12, v14, s[10:11]
	global_load_dword v12, v[12:13], off
	s_waitcnt vmcnt(0)
	ds_write_b32 v21, v12 offset:256
.LBB4_18:                               ;   in Loop: Header=BB4_13 Depth=1
	s_or_b64 exec, exec, s[12:13]
	s_and_saveexec_b64 s[12:13], s[40:41]
	s_cbranch_execz .LBB4_20
; %bb.19:                               ;   in Loop: Header=BB4_13 Depth=1
	s_mul_i32 s19, s39, s14
	s_mul_hi_u32 s22, s38, s14
	s_add_i32 s23, s22, s19
	s_mul_i32 s22, s38, s14
	v_lshl_add_u64 v[12:13], s[22:23], 2, v[10:11]
	global_load_dword v12, v[12:13], off
	s_waitcnt vmcnt(0)
	ds_write_b32 v20, v12
.LBB4_20:                               ;   in Loop: Header=BB4_13 Depth=1
	s_or_b64 exec, exec, s[12:13]
	s_waitcnt lgkmcnt(0)
	; wave barrier
	s_and_saveexec_b64 s[12:13], s[4:5]
	s_cbranch_execz .LBB4_12
; %bb.21:                               ;   in Loop: Header=BB4_13 Depth=1
	s_and_saveexec_b64 s[22:23], s[6:7]
	s_cbranch_execz .LBB4_24
; %bb.22:                               ;   in Loop: Header=BB4_13 Depth=1
	v_mov_b32_e32 v12, v18
	v_mov_b32_e32 v13, v17
	s_mov_b32 s19, s3
.LBB4_23:                               ;   Parent Loop BB4_13 Depth=1
                                        ; =>  This Inner Loop Header: Depth=2
	ds_read_b32 v14, v12
	ds_read_b32 v15, v13
	s_add_i32 s19, s19, -1
	v_add_u32_e32 v13, 4, v13
	v_add_u32_e32 v12, 4, v12
	s_cmp_lg_u32 s19, 0
	s_waitcnt lgkmcnt(0)
	v_fma_f32 v0, v14, v15, v0
	s_cbranch_scc1 .LBB4_23
.LBB4_24:                               ;   in Loop: Header=BB4_13 Depth=1
	s_or_b64 exec, exec, s[22:23]
	s_and_saveexec_b64 s[22:23], s[8:9]
	s_cbranch_execz .LBB4_11
; %bb.25:                               ;   in Loop: Header=BB4_13 Depth=1
	v_mov_b32_e32 v12, v18
	s_mov_b32 s19, s3
	v_mov_b32_e32 v13, v19
.LBB4_26:                               ;   Parent Loop BB4_13 Depth=1
                                        ; =>  This Inner Loop Header: Depth=2
	ds_read_b32 v14, v12
	ds_read_b32 v15, v13
	s_add_i32 s19, s19, -1
	v_add_u32_e32 v13, 4, v13
	v_add_u32_e32 v12, 4, v12
	s_cmp_lg_u32 s19, 0
	s_waitcnt lgkmcnt(0)
	v_fma_f32 v1, v14, v15, v1
	s_cbranch_scc1 .LBB4_26
	s_branch .LBB4_11
.LBB4_27:
	v_mov_b32_e32 v0, 0
	v_mov_b32_e32 v1, v0
.LBB4_28:
	s_and_b64 s[4:5], s[30:31], s[4:5]
	s_and_saveexec_b64 s[6:7], s[4:5]
	s_cbranch_execz .LBB4_48
; %bb.29:
	s_mul_i32 s2, s3, s2
	v_add_u32_e32 v6, s2, v16
	s_load_dwordx2 s[2:3], s[0:1], 0x70
	v_ashrrev_i32_e32 v7, 31, v6
	s_cmp_lg_u32 s16, 1
	v_cmp_neq_f32_e64 s[0:1], s28, 0
	s_cselect_b64 s[4:5], -1, 0
	s_waitcnt lgkmcnt(0)
	v_mul_lo_u32 v3, s2, v7
	v_mul_lo_u32 v5, s3, v6
	v_mad_u64_u32 v[8:9], s[6:7], s2, v6, 0
	v_add3_u32 v9, v9, v3, v5
	v_lshl_add_u64 v[8:9], v[8:9], 2, s[36:37]
	v_lshl_add_u64 v[6:7], v[6:7], 2, s[36:37]
	v_cmp_gt_i32_e32 vcc, s15, v4
	s_and_saveexec_b64 s[6:7], vcc
	s_cbranch_execz .LBB4_41
; %bb.30:
	s_and_b64 vcc, exec, s[0:1]
	v_ashrrev_i32_e32 v5, 31, v4
	s_mov_b64 s[8:9], -1
	s_cbranch_vccz .LBB4_36
; %bb.31:
	s_and_b64 vcc, exec, s[4:5]
	s_cbranch_vccz .LBB4_33
; %bb.32:
	v_lshl_add_u64 v[10:11], v[4:5], 2, v[8:9]
	global_load_dword v3, v[10:11], off
	v_mul_f32_e32 v12, s18, v0
	s_mov_b64 s[8:9], 0
	s_waitcnt vmcnt(0)
	v_fmac_f32_e32 v12, s28, v3
	global_store_dword v[10:11], v12, off
.LBB4_33:
	s_andn2_b64 vcc, exec, s[8:9]
	s_cbranch_vccnz .LBB4_35
; %bb.34:
	v_mul_lo_u32 v3, s3, v4
	v_mul_lo_u32 v12, s2, v5
	v_mad_u64_u32 v[10:11], s[8:9], s2, v4, 0
	v_add3_u32 v11, v11, v12, v3
	v_lshl_add_u64 v[10:11], v[10:11], 2, v[6:7]
	global_load_dword v3, v[10:11], off
	v_mul_f32_e32 v12, s18, v0
	s_waitcnt vmcnt(0)
	v_fmac_f32_e32 v12, s28, v3
	global_store_dword v[10:11], v12, off
.LBB4_35:
	s_mov_b64 s[8:9], 0
.LBB4_36:
	s_andn2_b64 vcc, exec, s[8:9]
	s_cbranch_vccnz .LBB4_41
; %bb.37:
	v_mul_f32_e32 v0, s18, v0
	s_mov_b64 s[8:9], -1
	s_and_b64 vcc, exec, s[4:5]
	s_cbranch_vccz .LBB4_39
; %bb.38:
	v_lshl_add_u64 v[10:11], v[4:5], 2, v[8:9]
	global_store_dword v[10:11], v0, off
	s_mov_b64 s[8:9], 0
.LBB4_39:
	s_andn2_b64 vcc, exec, s[8:9]
	s_cbranch_vccnz .LBB4_41
; %bb.40:
	v_mul_lo_u32 v3, s3, v4
	v_mul_lo_u32 v10, s2, v5
	v_mad_u64_u32 v[4:5], s[8:9], s2, v4, 0
	v_add3_u32 v5, v5, v10, v3
	v_lshl_add_u64 v[4:5], v[4:5], 2, v[6:7]
	global_store_dword v[4:5], v0, off
.LBB4_41:
	s_or_b64 exec, exec, s[6:7]
	v_cmp_gt_i32_e32 vcc, s15, v2
	s_and_b64 exec, exec, vcc
	s_cbranch_execz .LBB4_48
; %bb.42:
	v_cndmask_b32_e64 v0, 0, 1, s[4:5]
	s_andn2_b64 vcc, exec, s[0:1]
	v_ashrrev_i32_e32 v3, 31, v2
	v_cmp_ne_u32_e64 s[0:1], 1, v0
	s_cbranch_vccnz .LBB4_49
; %bb.43:
	s_and_b64 vcc, exec, s[0:1]
	s_mov_b64 s[4:5], -1
	s_cbranch_vccnz .LBB4_45
; %bb.44:
	v_lshl_add_u64 v[4:5], v[2:3], 2, v[8:9]
	global_load_dword v0, v[4:5], off
	v_mul_f32_e32 v10, s18, v1
	s_mov_b64 s[4:5], 0
	s_waitcnt vmcnt(0)
	v_fmac_f32_e32 v10, s28, v0
	global_store_dword v[4:5], v10, off
.LBB4_45:
	s_andn2_b64 vcc, exec, s[4:5]
	s_cbranch_vccnz .LBB4_47
; %bb.46:
	v_mul_lo_u32 v0, s3, v2
	v_mul_lo_u32 v10, s2, v3
	v_mad_u64_u32 v[4:5], s[4:5], s2, v2, 0
	v_add3_u32 v5, v5, v10, v0
	v_lshl_add_u64 v[4:5], v[4:5], 2, v[6:7]
	global_load_dword v0, v[4:5], off
	v_mul_f32_e32 v10, s18, v1
	s_waitcnt vmcnt(0)
	v_fmac_f32_e32 v10, s28, v0
	global_store_dword v[4:5], v10, off
.LBB4_47:
	s_cbranch_execz .LBB4_50
.LBB4_48:
	s_endpgm
.LBB4_49:
.LBB4_50:
	v_mul_f32_e32 v0, s18, v1
	s_and_b64 vcc, exec, s[0:1]
	s_mov_b64 s[0:1], -1
	s_cbranch_vccnz .LBB4_52
; %bb.51:
	v_lshl_add_u64 v[4:5], v[2:3], 2, v[8:9]
	s_mov_b64 s[0:1], 0
	global_store_dword v[4:5], v0, off
.LBB4_52:
	s_andn2_b64 vcc, exec, s[0:1]
	s_cbranch_vccnz .LBB4_48
; %bb.53:
	v_mul_lo_u32 v1, s3, v2
	v_mul_lo_u32 v4, s2, v3
	v_mad_u64_u32 v[2:3], s[0:1], s2, v2, 0
	v_add3_u32 v3, v3, v4, v1
	v_lshl_add_u64 v[2:3], v[2:3], 2, v[6:7]
	global_store_dword v[2:3], v0, off
	s_endpgm
	.section	.rodata,"a",@progbits
	.p2align	6, 0x0
	.amdhsa_kernel _ZN9rocsparseL31bsrmm_large_blockdim_kernel_extILj8ELj8ELj2EliffffEEvb20rocsparse_direction_T3_S2_llNS_24const_host_device_scalarIT7_EEPKT2_PKS2_PKT4_S2_PKT5_llS5_PT6_ll16rocsparse_order_21rocsparse_index_base_b
		.amdhsa_group_segment_fixed_size 768
		.amdhsa_private_segment_fixed_size 0
		.amdhsa_kernarg_size 140
		.amdhsa_user_sgpr_count 2
		.amdhsa_user_sgpr_dispatch_ptr 0
		.amdhsa_user_sgpr_queue_ptr 0
		.amdhsa_user_sgpr_kernarg_segment_ptr 1
		.amdhsa_user_sgpr_dispatch_id 0
		.amdhsa_user_sgpr_kernarg_preload_length 0
		.amdhsa_user_sgpr_kernarg_preload_offset 0
		.amdhsa_user_sgpr_private_segment_size 0
		.amdhsa_uses_dynamic_stack 0
		.amdhsa_enable_private_segment 0
		.amdhsa_system_sgpr_workgroup_id_x 1
		.amdhsa_system_sgpr_workgroup_id_y 1
		.amdhsa_system_sgpr_workgroup_id_z 0
		.amdhsa_system_sgpr_workgroup_info 0
		.amdhsa_system_vgpr_workitem_id 1
		.amdhsa_next_free_vgpr 26
		.amdhsa_next_free_sgpr 42
		.amdhsa_accum_offset 28
		.amdhsa_reserve_vcc 1
		.amdhsa_float_round_mode_32 0
		.amdhsa_float_round_mode_16_64 0
		.amdhsa_float_denorm_mode_32 3
		.amdhsa_float_denorm_mode_16_64 3
		.amdhsa_dx10_clamp 1
		.amdhsa_ieee_mode 1
		.amdhsa_fp16_overflow 0
		.amdhsa_tg_split 0
		.amdhsa_exception_fp_ieee_invalid_op 0
		.amdhsa_exception_fp_denorm_src 0
		.amdhsa_exception_fp_ieee_div_zero 0
		.amdhsa_exception_fp_ieee_overflow 0
		.amdhsa_exception_fp_ieee_underflow 0
		.amdhsa_exception_fp_ieee_inexact 0
		.amdhsa_exception_int_div_zero 0
	.end_amdhsa_kernel
	.section	.text._ZN9rocsparseL31bsrmm_large_blockdim_kernel_extILj8ELj8ELj2EliffffEEvb20rocsparse_direction_T3_S2_llNS_24const_host_device_scalarIT7_EEPKT2_PKS2_PKT4_S2_PKT5_llS5_PT6_ll16rocsparse_order_21rocsparse_index_base_b,"axG",@progbits,_ZN9rocsparseL31bsrmm_large_blockdim_kernel_extILj8ELj8ELj2EliffffEEvb20rocsparse_direction_T3_S2_llNS_24const_host_device_scalarIT7_EEPKT2_PKS2_PKT4_S2_PKT5_llS5_PT6_ll16rocsparse_order_21rocsparse_index_base_b,comdat
.Lfunc_end4:
	.size	_ZN9rocsparseL31bsrmm_large_blockdim_kernel_extILj8ELj8ELj2EliffffEEvb20rocsparse_direction_T3_S2_llNS_24const_host_device_scalarIT7_EEPKT2_PKS2_PKT4_S2_PKT5_llS5_PT6_ll16rocsparse_order_21rocsparse_index_base_b, .Lfunc_end4-_ZN9rocsparseL31bsrmm_large_blockdim_kernel_extILj8ELj8ELj2EliffffEEvb20rocsparse_direction_T3_S2_llNS_24const_host_device_scalarIT7_EEPKT2_PKS2_PKT4_S2_PKT5_llS5_PT6_ll16rocsparse_order_21rocsparse_index_base_b
                                        ; -- End function
	.set _ZN9rocsparseL31bsrmm_large_blockdim_kernel_extILj8ELj8ELj2EliffffEEvb20rocsparse_direction_T3_S2_llNS_24const_host_device_scalarIT7_EEPKT2_PKS2_PKT4_S2_PKT5_llS5_PT6_ll16rocsparse_order_21rocsparse_index_base_b.num_vgpr, 26
	.set _ZN9rocsparseL31bsrmm_large_blockdim_kernel_extILj8ELj8ELj2EliffffEEvb20rocsparse_direction_T3_S2_llNS_24const_host_device_scalarIT7_EEPKT2_PKS2_PKT4_S2_PKT5_llS5_PT6_ll16rocsparse_order_21rocsparse_index_base_b.num_agpr, 0
	.set _ZN9rocsparseL31bsrmm_large_blockdim_kernel_extILj8ELj8ELj2EliffffEEvb20rocsparse_direction_T3_S2_llNS_24const_host_device_scalarIT7_EEPKT2_PKS2_PKT4_S2_PKT5_llS5_PT6_ll16rocsparse_order_21rocsparse_index_base_b.numbered_sgpr, 42
	.set _ZN9rocsparseL31bsrmm_large_blockdim_kernel_extILj8ELj8ELj2EliffffEEvb20rocsparse_direction_T3_S2_llNS_24const_host_device_scalarIT7_EEPKT2_PKS2_PKT4_S2_PKT5_llS5_PT6_ll16rocsparse_order_21rocsparse_index_base_b.num_named_barrier, 0
	.set _ZN9rocsparseL31bsrmm_large_blockdim_kernel_extILj8ELj8ELj2EliffffEEvb20rocsparse_direction_T3_S2_llNS_24const_host_device_scalarIT7_EEPKT2_PKS2_PKT4_S2_PKT5_llS5_PT6_ll16rocsparse_order_21rocsparse_index_base_b.private_seg_size, 0
	.set _ZN9rocsparseL31bsrmm_large_blockdim_kernel_extILj8ELj8ELj2EliffffEEvb20rocsparse_direction_T3_S2_llNS_24const_host_device_scalarIT7_EEPKT2_PKS2_PKT4_S2_PKT5_llS5_PT6_ll16rocsparse_order_21rocsparse_index_base_b.uses_vcc, 1
	.set _ZN9rocsparseL31bsrmm_large_blockdim_kernel_extILj8ELj8ELj2EliffffEEvb20rocsparse_direction_T3_S2_llNS_24const_host_device_scalarIT7_EEPKT2_PKS2_PKT4_S2_PKT5_llS5_PT6_ll16rocsparse_order_21rocsparse_index_base_b.uses_flat_scratch, 0
	.set _ZN9rocsparseL31bsrmm_large_blockdim_kernel_extILj8ELj8ELj2EliffffEEvb20rocsparse_direction_T3_S2_llNS_24const_host_device_scalarIT7_EEPKT2_PKS2_PKT4_S2_PKT5_llS5_PT6_ll16rocsparse_order_21rocsparse_index_base_b.has_dyn_sized_stack, 0
	.set _ZN9rocsparseL31bsrmm_large_blockdim_kernel_extILj8ELj8ELj2EliffffEEvb20rocsparse_direction_T3_S2_llNS_24const_host_device_scalarIT7_EEPKT2_PKS2_PKT4_S2_PKT5_llS5_PT6_ll16rocsparse_order_21rocsparse_index_base_b.has_recursion, 0
	.set _ZN9rocsparseL31bsrmm_large_blockdim_kernel_extILj8ELj8ELj2EliffffEEvb20rocsparse_direction_T3_S2_llNS_24const_host_device_scalarIT7_EEPKT2_PKS2_PKT4_S2_PKT5_llS5_PT6_ll16rocsparse_order_21rocsparse_index_base_b.has_indirect_call, 0
	.section	.AMDGPU.csdata,"",@progbits
; Kernel info:
; codeLenInByte = 1672
; TotalNumSgprs: 48
; NumVgprs: 26
; NumAgprs: 0
; TotalNumVgprs: 26
; ScratchSize: 0
; MemoryBound: 0
; FloatMode: 240
; IeeeMode: 1
; LDSByteSize: 768 bytes/workgroup (compile time only)
; SGPRBlocks: 5
; VGPRBlocks: 3
; NumSGPRsForWavesPerEU: 48
; NumVGPRsForWavesPerEU: 26
; AccumOffset: 28
; Occupancy: 8
; WaveLimiterHint : 1
; COMPUTE_PGM_RSRC2:SCRATCH_EN: 0
; COMPUTE_PGM_RSRC2:USER_SGPR: 2
; COMPUTE_PGM_RSRC2:TRAP_HANDLER: 0
; COMPUTE_PGM_RSRC2:TGID_X_EN: 1
; COMPUTE_PGM_RSRC2:TGID_Y_EN: 1
; COMPUTE_PGM_RSRC2:TGID_Z_EN: 0
; COMPUTE_PGM_RSRC2:TIDIG_COMP_CNT: 1
; COMPUTE_PGM_RSRC3_GFX90A:ACCUM_OFFSET: 6
; COMPUTE_PGM_RSRC3_GFX90A:TG_SPLIT: 0
	.section	.text._ZN9rocsparseL31bsrmm_large_blockdim_kernel_extILj4ELj16ELj2EliffffEEvb20rocsparse_direction_T3_S2_llNS_24const_host_device_scalarIT7_EEPKT2_PKS2_PKT4_S2_PKT5_llS5_PT6_ll16rocsparse_order_21rocsparse_index_base_b,"axG",@progbits,_ZN9rocsparseL31bsrmm_large_blockdim_kernel_extILj4ELj16ELj2EliffffEEvb20rocsparse_direction_T3_S2_llNS_24const_host_device_scalarIT7_EEPKT2_PKS2_PKT4_S2_PKT5_llS5_PT6_ll16rocsparse_order_21rocsparse_index_base_b,comdat
	.globl	_ZN9rocsparseL31bsrmm_large_blockdim_kernel_extILj4ELj16ELj2EliffffEEvb20rocsparse_direction_T3_S2_llNS_24const_host_device_scalarIT7_EEPKT2_PKS2_PKT4_S2_PKT5_llS5_PT6_ll16rocsparse_order_21rocsparse_index_base_b ; -- Begin function _ZN9rocsparseL31bsrmm_large_blockdim_kernel_extILj4ELj16ELj2EliffffEEvb20rocsparse_direction_T3_S2_llNS_24const_host_device_scalarIT7_EEPKT2_PKS2_PKT4_S2_PKT5_llS5_PT6_ll16rocsparse_order_21rocsparse_index_base_b
	.p2align	8
	.type	_ZN9rocsparseL31bsrmm_large_blockdim_kernel_extILj4ELj16ELj2EliffffEEvb20rocsparse_direction_T3_S2_llNS_24const_host_device_scalarIT7_EEPKT2_PKS2_PKT4_S2_PKT5_llS5_PT6_ll16rocsparse_order_21rocsparse_index_base_b,@function
_ZN9rocsparseL31bsrmm_large_blockdim_kernel_extILj4ELj16ELj2EliffffEEvb20rocsparse_direction_T3_S2_llNS_24const_host_device_scalarIT7_EEPKT2_PKS2_PKT4_S2_PKT5_llS5_PT6_ll16rocsparse_order_21rocsparse_index_base_b: ; @_ZN9rocsparseL31bsrmm_large_blockdim_kernel_extILj4ELj16ELj2EliffffEEvb20rocsparse_direction_T3_S2_llNS_24const_host_device_scalarIT7_EEPKT2_PKS2_PKT4_S2_PKT5_llS5_PT6_ll16rocsparse_order_21rocsparse_index_base_b
; %bb.0:
	s_load_dwordx4 s[16:19], s[0:1], 0x80
	s_mov_b32 s4, s3
	s_waitcnt lgkmcnt(0)
	s_bitcmp1_b32 s18, 0
	s_load_dwordx2 s[18:19], s[0:1], 0x20
	s_load_dwordx2 s[28:29], s[0:1], 0x60
	s_cselect_b64 s[8:9], -1, 0
	s_xor_b64 s[6:7], s[8:9], -1
	s_and_b64 vcc, exec, s[8:9]
	s_cbranch_vccnz .LBB5_2
; %bb.1:
	s_waitcnt lgkmcnt(0)
	s_load_dword s18, s[18:19], 0x0
.LBB5_2:
	s_andn2_b64 vcc, exec, s[6:7]
	s_cbranch_vccnz .LBB5_4
; %bb.3:
	s_waitcnt lgkmcnt(0)
	s_load_dword s28, s[28:29], 0x0
.LBB5_4:
	s_waitcnt lgkmcnt(0)
	v_cmp_eq_f32_e64 s[6:7], s18, 0
	v_cmp_eq_f32_e64 s[8:9], s28, 1.0
	s_and_b64 s[6:7], s[6:7], s[8:9]
	s_and_b64 vcc, exec, s[6:7]
	s_cbranch_vccnz .LBB5_48
; %bb.5:
	s_load_dwordx4 s[12:15], s[0:1], 0x0
	s_load_dwordx2 s[6:7], s[0:1], 0x28
	s_mov_b64 s[34:35], 0
	s_mov_b64 s[38:39], 0
	s_waitcnt lgkmcnt(0)
	s_cmp_lt_i32 s2, s14
	s_cselect_b64 s[30:31], -1, 0
	s_cmp_ge_i32 s2, s14
	s_cbranch_scc1 .LBB5_7
; %bb.6:
	s_ashr_i32 s3, s2, 31
	s_lshl_b64 s[8:9], s[2:3], 3
	s_add_u32 s8, s6, s8
	s_addc_u32 s9, s7, s9
	s_load_dwordx2 s[8:9], s[8:9], 0x0
	s_waitcnt lgkmcnt(0)
	s_sub_u32 s38, s8, s17
	s_subb_u32 s39, s9, 0
.LBB5_7:
	s_andn2_b64 vcc, exec, s[30:31]
	s_cbranch_vccnz .LBB5_9
; %bb.8:
	s_ashr_i32 s3, s2, 31
	s_lshl_b64 s[8:9], s[2:3], 3
	s_add_u32 s6, s6, s8
	s_addc_u32 s7, s7, s9
	s_load_dwordx2 s[6:7], s[6:7], 0x8
	s_waitcnt lgkmcnt(0)
	s_sub_u32 s34, s6, s17
	s_subb_u32 s35, s7, 0
.LBB5_9:
	s_load_dwordx2 s[36:37], s[0:1], 0x68
	s_load_dword s3, s[0:1], 0x40
	v_bfe_u32 v1, v0, 10, 10
	v_lshl_add_u32 v4, s4, 5, v1
	v_mov_b64_e32 v[6:7], s[34:35]
	v_add_u32_e32 v2, 16, v4
	v_and_b32_e32 v16, 0x3ff, v0
	v_cmp_ge_i64_e32 vcc, s[38:39], v[6:7]
	s_waitcnt lgkmcnt(0)
	v_cmp_gt_i32_e64 s[4:5], s3, v16
	v_cmp_gt_i32_e64 s[6:7], s15, v4
	;; [unrolled: 1-line block ×3, first 2 shown]
	s_cbranch_vccnz .LBB5_27
; %bb.10:
	s_load_dwordx4 s[20:23], s[0:1], 0x30
	s_load_dwordx4 s[24:27], s[0:1], 0x48
	v_cmp_gt_i32_e32 vcc, s3, v1
	v_lshlrev_b32_e32 v6, 2, v1
	v_lshlrev_b32_e32 v17, 4, v1
	v_mul_lo_u32 v0, s3, v1
	v_mov_b32_e32 v1, 0
	s_and_b64 s[40:41], s[4:5], vcc
	v_lshlrev_b32_e32 v12, 2, v16
	s_waitcnt lgkmcnt(0)
	v_lshl_add_u64 v[8:9], v[0:1], 2, s[22:23]
	v_mov_b32_e32 v13, v1
	v_mul_lo_u32 v0, s3, v16
	s_bitcmp1_b32 s12, 0
	v_lshl_add_u64 v[10:11], v[8:9], 0, v[12:13]
	v_lshl_add_u64 v[8:9], v[0:1], 2, s[22:23]
	v_mov_b32_e32 v7, v1
	v_ashrrev_i32_e32 v5, 31, v4
	s_cselect_b64 s[10:11], -1, 0
	v_add_u32_e32 v20, 0x200, v6
	s_cmp_eq_u32 s13, 0
	v_lshl_add_u64 v[14:15], v[8:9], 0, v[6:7]
	v_mul_lo_u32 v0, s27, v4
	v_mul_lo_u32 v3, s26, v5
	v_mad_u64_u32 v[6:7], s[12:13], s26, v4, 0
	v_add3_u32 v7, v7, v3, v0
	v_ashrrev_i32_e32 v3, 31, v2
	v_lshlrev_b32_e32 v13, 4, v16
	v_mul_lo_u32 v0, s27, v2
	v_mul_lo_u32 v18, s26, v3
	v_mad_u64_u32 v[8:9], s[12:13], s26, v2, 0
	s_cselect_b64 vcc, -1, 0
	s_mul_i32 s14, s3, s3
	v_add3_u32 v9, v9, v18, v0
	v_cndmask_b32_e32 v11, v11, v15, vcc
	v_cndmask_b32_e32 v10, v10, v14, vcc
	v_add_u32_e32 v18, 0x200, v13
	v_add_u32_e32 v19, 0x100, v17
	v_mov_b32_e32 v0, v1
	v_add_u32_e32 v20, v20, v13
	v_add_u32_e32 v21, v12, v17
	s_branch .LBB5_13
.LBB5_11:                               ;   in Loop: Header=BB5_13 Depth=1
	s_or_b64 exec, exec, s[22:23]
.LBB5_12:                               ;   in Loop: Header=BB5_13 Depth=1
	s_or_b64 exec, exec, s[12:13]
	s_add_u32 s38, s38, 1
	s_addc_u32 s39, s39, 0
	v_mov_b64_e32 v[12:13], s[34:35]
	v_cmp_ge_i64_e32 vcc, s[38:39], v[12:13]
	; wave barrier
	s_cbranch_vccnz .LBB5_28
.LBB5_13:                               ; =>This Loop Header: Depth=1
                                        ;     Child Loop BB5_23 Depth 2
                                        ;     Child Loop BB5_26 Depth 2
	s_and_saveexec_b64 s[12:13], s[4:5]
	s_cbranch_execz .LBB5_18
; %bb.14:                               ;   in Loop: Header=BB5_13 Depth=1
	s_lshl_b64 s[22:23], s[38:39], 2
	s_add_u32 s22, s20, s22
	s_addc_u32 s23, s21, s23
	s_load_dword s19, s[22:23], 0x0
	s_waitcnt lgkmcnt(0)
	s_sub_i32 s19, s19, s17
	s_mul_i32 s19, s19, s3
	v_add_u32_e32 v14, s19, v16
	v_ashrrev_i32_e32 v15, 31, v14
	v_mul_lo_u32 v22, s27, v14
	v_mad_u64_u32 v[12:13], s[22:23], s26, v14, 0
	v_mul_lo_u32 v23, s26, v15
	v_add3_u32 v13, v13, v23, v22
	v_lshl_add_u64 v[12:13], v[12:13], 2, s[24:25]
	v_lshl_add_u64 v[14:15], v[14:15], 2, s[24:25]
	s_and_saveexec_b64 s[22:23], s[6:7]
	s_cbranch_execz .LBB5_16
; %bb.15:                               ;   in Loop: Header=BB5_13 Depth=1
	v_lshl_add_u64 v[22:23], v[4:5], 2, v[12:13]
	v_lshl_add_u64 v[24:25], v[6:7], 2, v[14:15]
	v_cndmask_b32_e64 v23, v23, v25, s[10:11]
	v_cndmask_b32_e64 v22, v22, v24, s[10:11]
	global_load_dword v22, v[22:23], off
	s_waitcnt vmcnt(0)
	ds_write_b32 v21, v22
.LBB5_16:                               ;   in Loop: Header=BB5_13 Depth=1
	s_or_b64 exec, exec, s[22:23]
	s_and_b64 exec, exec, s[8:9]
	s_cbranch_execz .LBB5_18
; %bb.17:                               ;   in Loop: Header=BB5_13 Depth=1
	v_lshl_add_u64 v[14:15], v[8:9], 2, v[14:15]
	v_lshl_add_u64 v[12:13], v[2:3], 2, v[12:13]
	v_cndmask_b32_e64 v13, v13, v15, s[10:11]
	v_cndmask_b32_e64 v12, v12, v14, s[10:11]
	global_load_dword v12, v[12:13], off
	s_waitcnt vmcnt(0)
	ds_write_b32 v21, v12 offset:256
.LBB5_18:                               ;   in Loop: Header=BB5_13 Depth=1
	s_or_b64 exec, exec, s[12:13]
	s_and_saveexec_b64 s[12:13], s[40:41]
	s_cbranch_execz .LBB5_20
; %bb.19:                               ;   in Loop: Header=BB5_13 Depth=1
	s_mul_i32 s19, s39, s14
	s_mul_hi_u32 s22, s38, s14
	s_add_i32 s23, s22, s19
	s_mul_i32 s22, s38, s14
	v_lshl_add_u64 v[12:13], s[22:23], 2, v[10:11]
	global_load_dword v12, v[12:13], off
	s_waitcnt vmcnt(0)
	ds_write_b32 v20, v12
.LBB5_20:                               ;   in Loop: Header=BB5_13 Depth=1
	s_or_b64 exec, exec, s[12:13]
	s_waitcnt lgkmcnt(0)
	; wave barrier
	s_and_saveexec_b64 s[12:13], s[4:5]
	s_cbranch_execz .LBB5_12
; %bb.21:                               ;   in Loop: Header=BB5_13 Depth=1
	s_and_saveexec_b64 s[22:23], s[6:7]
	s_cbranch_execz .LBB5_24
; %bb.22:                               ;   in Loop: Header=BB5_13 Depth=1
	v_mov_b32_e32 v12, v18
	v_mov_b32_e32 v13, v17
	s_mov_b32 s19, s3
.LBB5_23:                               ;   Parent Loop BB5_13 Depth=1
                                        ; =>  This Inner Loop Header: Depth=2
	ds_read_b32 v14, v12
	ds_read_b32 v15, v13
	s_add_i32 s19, s19, -1
	v_add_u32_e32 v13, 4, v13
	v_add_u32_e32 v12, 4, v12
	s_cmp_lg_u32 s19, 0
	s_waitcnt lgkmcnt(0)
	v_fma_f32 v0, v14, v15, v0
	s_cbranch_scc1 .LBB5_23
.LBB5_24:                               ;   in Loop: Header=BB5_13 Depth=1
	s_or_b64 exec, exec, s[22:23]
	s_and_saveexec_b64 s[22:23], s[8:9]
	s_cbranch_execz .LBB5_11
; %bb.25:                               ;   in Loop: Header=BB5_13 Depth=1
	v_mov_b32_e32 v12, v18
	s_mov_b32 s19, s3
	v_mov_b32_e32 v13, v19
.LBB5_26:                               ;   Parent Loop BB5_13 Depth=1
                                        ; =>  This Inner Loop Header: Depth=2
	ds_read_b32 v14, v12
	ds_read_b32 v15, v13
	s_add_i32 s19, s19, -1
	v_add_u32_e32 v13, 4, v13
	v_add_u32_e32 v12, 4, v12
	s_cmp_lg_u32 s19, 0
	s_waitcnt lgkmcnt(0)
	v_fma_f32 v1, v14, v15, v1
	s_cbranch_scc1 .LBB5_26
	s_branch .LBB5_11
.LBB5_27:
	v_mov_b32_e32 v0, 0
	v_mov_b32_e32 v1, v0
.LBB5_28:
	s_and_b64 s[4:5], s[30:31], s[4:5]
	s_and_saveexec_b64 s[6:7], s[4:5]
	s_cbranch_execz .LBB5_48
; %bb.29:
	s_mul_i32 s2, s3, s2
	v_add_u32_e32 v6, s2, v16
	s_load_dwordx2 s[2:3], s[0:1], 0x70
	v_ashrrev_i32_e32 v7, 31, v6
	s_cmp_lg_u32 s16, 1
	v_cmp_neq_f32_e64 s[0:1], s28, 0
	s_cselect_b64 s[4:5], -1, 0
	s_waitcnt lgkmcnt(0)
	v_mul_lo_u32 v3, s2, v7
	v_mul_lo_u32 v5, s3, v6
	v_mad_u64_u32 v[8:9], s[6:7], s2, v6, 0
	v_add3_u32 v9, v9, v3, v5
	v_lshl_add_u64 v[8:9], v[8:9], 2, s[36:37]
	v_lshl_add_u64 v[6:7], v[6:7], 2, s[36:37]
	v_cmp_gt_i32_e32 vcc, s15, v4
	s_and_saveexec_b64 s[6:7], vcc
	s_cbranch_execz .LBB5_41
; %bb.30:
	s_and_b64 vcc, exec, s[0:1]
	v_ashrrev_i32_e32 v5, 31, v4
	s_mov_b64 s[8:9], -1
	s_cbranch_vccz .LBB5_36
; %bb.31:
	s_and_b64 vcc, exec, s[4:5]
	s_cbranch_vccz .LBB5_33
; %bb.32:
	v_lshl_add_u64 v[10:11], v[4:5], 2, v[8:9]
	global_load_dword v3, v[10:11], off
	v_mul_f32_e32 v12, s18, v0
	s_mov_b64 s[8:9], 0
	s_waitcnt vmcnt(0)
	v_fmac_f32_e32 v12, s28, v3
	global_store_dword v[10:11], v12, off
.LBB5_33:
	s_andn2_b64 vcc, exec, s[8:9]
	s_cbranch_vccnz .LBB5_35
; %bb.34:
	v_mul_lo_u32 v3, s3, v4
	v_mul_lo_u32 v12, s2, v5
	v_mad_u64_u32 v[10:11], s[8:9], s2, v4, 0
	v_add3_u32 v11, v11, v12, v3
	v_lshl_add_u64 v[10:11], v[10:11], 2, v[6:7]
	global_load_dword v3, v[10:11], off
	v_mul_f32_e32 v12, s18, v0
	s_waitcnt vmcnt(0)
	v_fmac_f32_e32 v12, s28, v3
	global_store_dword v[10:11], v12, off
.LBB5_35:
	s_mov_b64 s[8:9], 0
.LBB5_36:
	s_andn2_b64 vcc, exec, s[8:9]
	s_cbranch_vccnz .LBB5_41
; %bb.37:
	v_mul_f32_e32 v0, s18, v0
	s_mov_b64 s[8:9], -1
	s_and_b64 vcc, exec, s[4:5]
	s_cbranch_vccz .LBB5_39
; %bb.38:
	v_lshl_add_u64 v[10:11], v[4:5], 2, v[8:9]
	global_store_dword v[10:11], v0, off
	s_mov_b64 s[8:9], 0
.LBB5_39:
	s_andn2_b64 vcc, exec, s[8:9]
	s_cbranch_vccnz .LBB5_41
; %bb.40:
	v_mul_lo_u32 v3, s3, v4
	v_mul_lo_u32 v10, s2, v5
	v_mad_u64_u32 v[4:5], s[8:9], s2, v4, 0
	v_add3_u32 v5, v5, v10, v3
	v_lshl_add_u64 v[4:5], v[4:5], 2, v[6:7]
	global_store_dword v[4:5], v0, off
.LBB5_41:
	s_or_b64 exec, exec, s[6:7]
	v_cmp_gt_i32_e32 vcc, s15, v2
	s_and_b64 exec, exec, vcc
	s_cbranch_execz .LBB5_48
; %bb.42:
	v_cndmask_b32_e64 v0, 0, 1, s[4:5]
	s_andn2_b64 vcc, exec, s[0:1]
	v_ashrrev_i32_e32 v3, 31, v2
	v_cmp_ne_u32_e64 s[0:1], 1, v0
	s_cbranch_vccnz .LBB5_49
; %bb.43:
	s_and_b64 vcc, exec, s[0:1]
	s_mov_b64 s[4:5], -1
	s_cbranch_vccnz .LBB5_45
; %bb.44:
	v_lshl_add_u64 v[4:5], v[2:3], 2, v[8:9]
	global_load_dword v0, v[4:5], off
	v_mul_f32_e32 v10, s18, v1
	s_mov_b64 s[4:5], 0
	s_waitcnt vmcnt(0)
	v_fmac_f32_e32 v10, s28, v0
	global_store_dword v[4:5], v10, off
.LBB5_45:
	s_andn2_b64 vcc, exec, s[4:5]
	s_cbranch_vccnz .LBB5_47
; %bb.46:
	v_mul_lo_u32 v0, s3, v2
	v_mul_lo_u32 v10, s2, v3
	v_mad_u64_u32 v[4:5], s[4:5], s2, v2, 0
	v_add3_u32 v5, v5, v10, v0
	v_lshl_add_u64 v[4:5], v[4:5], 2, v[6:7]
	global_load_dword v0, v[4:5], off
	v_mul_f32_e32 v10, s18, v1
	s_waitcnt vmcnt(0)
	v_fmac_f32_e32 v10, s28, v0
	global_store_dword v[4:5], v10, off
.LBB5_47:
	s_cbranch_execz .LBB5_50
.LBB5_48:
	s_endpgm
.LBB5_49:
.LBB5_50:
	v_mul_f32_e32 v0, s18, v1
	s_and_b64 vcc, exec, s[0:1]
	s_mov_b64 s[0:1], -1
	s_cbranch_vccnz .LBB5_52
; %bb.51:
	v_lshl_add_u64 v[4:5], v[2:3], 2, v[8:9]
	s_mov_b64 s[0:1], 0
	global_store_dword v[4:5], v0, off
.LBB5_52:
	s_andn2_b64 vcc, exec, s[0:1]
	s_cbranch_vccnz .LBB5_48
; %bb.53:
	v_mul_lo_u32 v1, s3, v2
	v_mul_lo_u32 v4, s2, v3
	v_mad_u64_u32 v[2:3], s[0:1], s2, v2, 0
	v_add3_u32 v3, v3, v4, v1
	v_lshl_add_u64 v[2:3], v[2:3], 2, v[6:7]
	global_store_dword v[2:3], v0, off
	s_endpgm
	.section	.rodata,"a",@progbits
	.p2align	6, 0x0
	.amdhsa_kernel _ZN9rocsparseL31bsrmm_large_blockdim_kernel_extILj4ELj16ELj2EliffffEEvb20rocsparse_direction_T3_S2_llNS_24const_host_device_scalarIT7_EEPKT2_PKS2_PKT4_S2_PKT5_llS5_PT6_ll16rocsparse_order_21rocsparse_index_base_b
		.amdhsa_group_segment_fixed_size 576
		.amdhsa_private_segment_fixed_size 0
		.amdhsa_kernarg_size 140
		.amdhsa_user_sgpr_count 2
		.amdhsa_user_sgpr_dispatch_ptr 0
		.amdhsa_user_sgpr_queue_ptr 0
		.amdhsa_user_sgpr_kernarg_segment_ptr 1
		.amdhsa_user_sgpr_dispatch_id 0
		.amdhsa_user_sgpr_kernarg_preload_length 0
		.amdhsa_user_sgpr_kernarg_preload_offset 0
		.amdhsa_user_sgpr_private_segment_size 0
		.amdhsa_uses_dynamic_stack 0
		.amdhsa_enable_private_segment 0
		.amdhsa_system_sgpr_workgroup_id_x 1
		.amdhsa_system_sgpr_workgroup_id_y 1
		.amdhsa_system_sgpr_workgroup_id_z 0
		.amdhsa_system_sgpr_workgroup_info 0
		.amdhsa_system_vgpr_workitem_id 1
		.amdhsa_next_free_vgpr 26
		.amdhsa_next_free_sgpr 42
		.amdhsa_accum_offset 28
		.amdhsa_reserve_vcc 1
		.amdhsa_float_round_mode_32 0
		.amdhsa_float_round_mode_16_64 0
		.amdhsa_float_denorm_mode_32 3
		.amdhsa_float_denorm_mode_16_64 3
		.amdhsa_dx10_clamp 1
		.amdhsa_ieee_mode 1
		.amdhsa_fp16_overflow 0
		.amdhsa_tg_split 0
		.amdhsa_exception_fp_ieee_invalid_op 0
		.amdhsa_exception_fp_denorm_src 0
		.amdhsa_exception_fp_ieee_div_zero 0
		.amdhsa_exception_fp_ieee_overflow 0
		.amdhsa_exception_fp_ieee_underflow 0
		.amdhsa_exception_fp_ieee_inexact 0
		.amdhsa_exception_int_div_zero 0
	.end_amdhsa_kernel
	.section	.text._ZN9rocsparseL31bsrmm_large_blockdim_kernel_extILj4ELj16ELj2EliffffEEvb20rocsparse_direction_T3_S2_llNS_24const_host_device_scalarIT7_EEPKT2_PKS2_PKT4_S2_PKT5_llS5_PT6_ll16rocsparse_order_21rocsparse_index_base_b,"axG",@progbits,_ZN9rocsparseL31bsrmm_large_blockdim_kernel_extILj4ELj16ELj2EliffffEEvb20rocsparse_direction_T3_S2_llNS_24const_host_device_scalarIT7_EEPKT2_PKS2_PKT4_S2_PKT5_llS5_PT6_ll16rocsparse_order_21rocsparse_index_base_b,comdat
.Lfunc_end5:
	.size	_ZN9rocsparseL31bsrmm_large_blockdim_kernel_extILj4ELj16ELj2EliffffEEvb20rocsparse_direction_T3_S2_llNS_24const_host_device_scalarIT7_EEPKT2_PKS2_PKT4_S2_PKT5_llS5_PT6_ll16rocsparse_order_21rocsparse_index_base_b, .Lfunc_end5-_ZN9rocsparseL31bsrmm_large_blockdim_kernel_extILj4ELj16ELj2EliffffEEvb20rocsparse_direction_T3_S2_llNS_24const_host_device_scalarIT7_EEPKT2_PKS2_PKT4_S2_PKT5_llS5_PT6_ll16rocsparse_order_21rocsparse_index_base_b
                                        ; -- End function
	.set _ZN9rocsparseL31bsrmm_large_blockdim_kernel_extILj4ELj16ELj2EliffffEEvb20rocsparse_direction_T3_S2_llNS_24const_host_device_scalarIT7_EEPKT2_PKS2_PKT4_S2_PKT5_llS5_PT6_ll16rocsparse_order_21rocsparse_index_base_b.num_vgpr, 26
	.set _ZN9rocsparseL31bsrmm_large_blockdim_kernel_extILj4ELj16ELj2EliffffEEvb20rocsparse_direction_T3_S2_llNS_24const_host_device_scalarIT7_EEPKT2_PKS2_PKT4_S2_PKT5_llS5_PT6_ll16rocsparse_order_21rocsparse_index_base_b.num_agpr, 0
	.set _ZN9rocsparseL31bsrmm_large_blockdim_kernel_extILj4ELj16ELj2EliffffEEvb20rocsparse_direction_T3_S2_llNS_24const_host_device_scalarIT7_EEPKT2_PKS2_PKT4_S2_PKT5_llS5_PT6_ll16rocsparse_order_21rocsparse_index_base_b.numbered_sgpr, 42
	.set _ZN9rocsparseL31bsrmm_large_blockdim_kernel_extILj4ELj16ELj2EliffffEEvb20rocsparse_direction_T3_S2_llNS_24const_host_device_scalarIT7_EEPKT2_PKS2_PKT4_S2_PKT5_llS5_PT6_ll16rocsparse_order_21rocsparse_index_base_b.num_named_barrier, 0
	.set _ZN9rocsparseL31bsrmm_large_blockdim_kernel_extILj4ELj16ELj2EliffffEEvb20rocsparse_direction_T3_S2_llNS_24const_host_device_scalarIT7_EEPKT2_PKS2_PKT4_S2_PKT5_llS5_PT6_ll16rocsparse_order_21rocsparse_index_base_b.private_seg_size, 0
	.set _ZN9rocsparseL31bsrmm_large_blockdim_kernel_extILj4ELj16ELj2EliffffEEvb20rocsparse_direction_T3_S2_llNS_24const_host_device_scalarIT7_EEPKT2_PKS2_PKT4_S2_PKT5_llS5_PT6_ll16rocsparse_order_21rocsparse_index_base_b.uses_vcc, 1
	.set _ZN9rocsparseL31bsrmm_large_blockdim_kernel_extILj4ELj16ELj2EliffffEEvb20rocsparse_direction_T3_S2_llNS_24const_host_device_scalarIT7_EEPKT2_PKS2_PKT4_S2_PKT5_llS5_PT6_ll16rocsparse_order_21rocsparse_index_base_b.uses_flat_scratch, 0
	.set _ZN9rocsparseL31bsrmm_large_blockdim_kernel_extILj4ELj16ELj2EliffffEEvb20rocsparse_direction_T3_S2_llNS_24const_host_device_scalarIT7_EEPKT2_PKS2_PKT4_S2_PKT5_llS5_PT6_ll16rocsparse_order_21rocsparse_index_base_b.has_dyn_sized_stack, 0
	.set _ZN9rocsparseL31bsrmm_large_blockdim_kernel_extILj4ELj16ELj2EliffffEEvb20rocsparse_direction_T3_S2_llNS_24const_host_device_scalarIT7_EEPKT2_PKS2_PKT4_S2_PKT5_llS5_PT6_ll16rocsparse_order_21rocsparse_index_base_b.has_recursion, 0
	.set _ZN9rocsparseL31bsrmm_large_blockdim_kernel_extILj4ELj16ELj2EliffffEEvb20rocsparse_direction_T3_S2_llNS_24const_host_device_scalarIT7_EEPKT2_PKS2_PKT4_S2_PKT5_llS5_PT6_ll16rocsparse_order_21rocsparse_index_base_b.has_indirect_call, 0
	.section	.AMDGPU.csdata,"",@progbits
; Kernel info:
; codeLenInByte = 1672
; TotalNumSgprs: 48
; NumVgprs: 26
; NumAgprs: 0
; TotalNumVgprs: 26
; ScratchSize: 0
; MemoryBound: 0
; FloatMode: 240
; IeeeMode: 1
; LDSByteSize: 576 bytes/workgroup (compile time only)
; SGPRBlocks: 5
; VGPRBlocks: 3
; NumSGPRsForWavesPerEU: 48
; NumVGPRsForWavesPerEU: 26
; AccumOffset: 28
; Occupancy: 8
; WaveLimiterHint : 1
; COMPUTE_PGM_RSRC2:SCRATCH_EN: 0
; COMPUTE_PGM_RSRC2:USER_SGPR: 2
; COMPUTE_PGM_RSRC2:TRAP_HANDLER: 0
; COMPUTE_PGM_RSRC2:TGID_X_EN: 1
; COMPUTE_PGM_RSRC2:TGID_Y_EN: 1
; COMPUTE_PGM_RSRC2:TGID_Z_EN: 0
; COMPUTE_PGM_RSRC2:TIDIG_COMP_CNT: 1
; COMPUTE_PGM_RSRC3_GFX90A:ACCUM_OFFSET: 6
; COMPUTE_PGM_RSRC3_GFX90A:TG_SPLIT: 0
	.section	.text._ZN9rocsparseL31bsrmm_large_blockdim_kernel_extILj16ELj16ELj2EliffffEEvb20rocsparse_direction_T3_S2_llNS_24const_host_device_scalarIT7_EEPKT2_PKS2_PKT4_S2_PKT5_llS5_PT6_ll16rocsparse_order_21rocsparse_index_base_b,"axG",@progbits,_ZN9rocsparseL31bsrmm_large_blockdim_kernel_extILj16ELj16ELj2EliffffEEvb20rocsparse_direction_T3_S2_llNS_24const_host_device_scalarIT7_EEPKT2_PKS2_PKT4_S2_PKT5_llS5_PT6_ll16rocsparse_order_21rocsparse_index_base_b,comdat
	.globl	_ZN9rocsparseL31bsrmm_large_blockdim_kernel_extILj16ELj16ELj2EliffffEEvb20rocsparse_direction_T3_S2_llNS_24const_host_device_scalarIT7_EEPKT2_PKS2_PKT4_S2_PKT5_llS5_PT6_ll16rocsparse_order_21rocsparse_index_base_b ; -- Begin function _ZN9rocsparseL31bsrmm_large_blockdim_kernel_extILj16ELj16ELj2EliffffEEvb20rocsparse_direction_T3_S2_llNS_24const_host_device_scalarIT7_EEPKT2_PKS2_PKT4_S2_PKT5_llS5_PT6_ll16rocsparse_order_21rocsparse_index_base_b
	.p2align	8
	.type	_ZN9rocsparseL31bsrmm_large_blockdim_kernel_extILj16ELj16ELj2EliffffEEvb20rocsparse_direction_T3_S2_llNS_24const_host_device_scalarIT7_EEPKT2_PKS2_PKT4_S2_PKT5_llS5_PT6_ll16rocsparse_order_21rocsparse_index_base_b,@function
_ZN9rocsparseL31bsrmm_large_blockdim_kernel_extILj16ELj16ELj2EliffffEEvb20rocsparse_direction_T3_S2_llNS_24const_host_device_scalarIT7_EEPKT2_PKS2_PKT4_S2_PKT5_llS5_PT6_ll16rocsparse_order_21rocsparse_index_base_b: ; @_ZN9rocsparseL31bsrmm_large_blockdim_kernel_extILj16ELj16ELj2EliffffEEvb20rocsparse_direction_T3_S2_llNS_24const_host_device_scalarIT7_EEPKT2_PKS2_PKT4_S2_PKT5_llS5_PT6_ll16rocsparse_order_21rocsparse_index_base_b
; %bb.0:
	s_load_dwordx4 s[16:19], s[0:1], 0x80
	s_mov_b32 s4, s3
	s_waitcnt lgkmcnt(0)
	s_bitcmp1_b32 s18, 0
	s_load_dwordx2 s[18:19], s[0:1], 0x20
	s_load_dwordx2 s[28:29], s[0:1], 0x60
	s_cselect_b64 s[8:9], -1, 0
	s_xor_b64 s[6:7], s[8:9], -1
	s_and_b64 vcc, exec, s[8:9]
	s_cbranch_vccnz .LBB6_2
; %bb.1:
	s_waitcnt lgkmcnt(0)
	s_load_dword s18, s[18:19], 0x0
.LBB6_2:
	s_andn2_b64 vcc, exec, s[6:7]
	s_cbranch_vccnz .LBB6_4
; %bb.3:
	s_waitcnt lgkmcnt(0)
	s_load_dword s28, s[28:29], 0x0
.LBB6_4:
	s_waitcnt lgkmcnt(0)
	v_cmp_eq_f32_e64 s[6:7], s18, 0
	v_cmp_eq_f32_e64 s[8:9], s28, 1.0
	s_and_b64 s[6:7], s[6:7], s[8:9]
	s_and_b64 vcc, exec, s[6:7]
	s_cbranch_vccnz .LBB6_48
; %bb.5:
	s_load_dwordx4 s[12:15], s[0:1], 0x0
	s_load_dwordx2 s[6:7], s[0:1], 0x28
	s_mov_b64 s[34:35], 0
	s_mov_b64 s[38:39], 0
	s_waitcnt lgkmcnt(0)
	s_cmp_lt_i32 s2, s14
	s_cselect_b64 s[30:31], -1, 0
	s_cmp_ge_i32 s2, s14
	s_cbranch_scc1 .LBB6_7
; %bb.6:
	s_ashr_i32 s3, s2, 31
	s_lshl_b64 s[8:9], s[2:3], 3
	s_add_u32 s8, s6, s8
	s_addc_u32 s9, s7, s9
	s_load_dwordx2 s[8:9], s[8:9], 0x0
	s_waitcnt lgkmcnt(0)
	s_sub_u32 s38, s8, s17
	s_subb_u32 s39, s9, 0
.LBB6_7:
	s_andn2_b64 vcc, exec, s[30:31]
	s_cbranch_vccnz .LBB6_9
; %bb.8:
	s_ashr_i32 s3, s2, 31
	s_lshl_b64 s[8:9], s[2:3], 3
	s_add_u32 s6, s6, s8
	s_addc_u32 s7, s7, s9
	s_load_dwordx2 s[6:7], s[6:7], 0x8
	s_waitcnt lgkmcnt(0)
	s_sub_u32 s34, s6, s17
	s_subb_u32 s35, s7, 0
.LBB6_9:
	s_load_dwordx2 s[36:37], s[0:1], 0x68
	s_load_dword s3, s[0:1], 0x40
	v_bfe_u32 v1, v0, 10, 10
	v_lshl_add_u32 v4, s4, 5, v1
	v_mov_b64_e32 v[6:7], s[34:35]
	v_add_u32_e32 v2, 16, v4
	v_and_b32_e32 v16, 0x3ff, v0
	v_cmp_ge_i64_e32 vcc, s[38:39], v[6:7]
	s_waitcnt lgkmcnt(0)
	v_cmp_gt_i32_e64 s[4:5], s3, v16
	v_cmp_gt_i32_e64 s[6:7], s15, v4
	;; [unrolled: 1-line block ×3, first 2 shown]
	s_cbranch_vccnz .LBB6_27
; %bb.10:
	s_load_dwordx4 s[20:23], s[0:1], 0x30
	s_load_dwordx4 s[24:27], s[0:1], 0x48
	v_cmp_gt_i32_e32 vcc, s3, v1
	v_lshlrev_b32_e32 v6, 2, v1
	v_lshlrev_b32_e32 v17, 6, v1
	v_mul_lo_u32 v0, s3, v1
	v_mov_b32_e32 v1, 0
	s_and_b64 s[40:41], s[4:5], vcc
	v_lshlrev_b32_e32 v12, 2, v16
	s_waitcnt lgkmcnt(0)
	v_lshl_add_u64 v[8:9], v[0:1], 2, s[22:23]
	v_mov_b32_e32 v13, v1
	v_mul_lo_u32 v0, s3, v16
	s_bitcmp1_b32 s12, 0
	v_lshl_add_u64 v[10:11], v[8:9], 0, v[12:13]
	v_lshl_add_u64 v[8:9], v[0:1], 2, s[22:23]
	v_mov_b32_e32 v7, v1
	v_ashrrev_i32_e32 v5, 31, v4
	s_cselect_b64 s[10:11], -1, 0
	v_add_u32_e32 v20, 0x800, v6
	s_cmp_eq_u32 s13, 0
	v_lshl_add_u64 v[14:15], v[8:9], 0, v[6:7]
	v_mul_lo_u32 v0, s27, v4
	v_mul_lo_u32 v3, s26, v5
	v_mad_u64_u32 v[6:7], s[12:13], s26, v4, 0
	v_add3_u32 v7, v7, v3, v0
	v_ashrrev_i32_e32 v3, 31, v2
	v_lshlrev_b32_e32 v13, 6, v16
	v_mul_lo_u32 v0, s27, v2
	v_mul_lo_u32 v18, s26, v3
	v_mad_u64_u32 v[8:9], s[12:13], s26, v2, 0
	s_cselect_b64 vcc, -1, 0
	s_mul_i32 s14, s3, s3
	v_add3_u32 v9, v9, v18, v0
	v_cndmask_b32_e32 v11, v11, v15, vcc
	v_cndmask_b32_e32 v10, v10, v14, vcc
	v_add_u32_e32 v18, 0x800, v13
	v_add_u32_e32 v19, 0x400, v17
	v_mov_b32_e32 v0, v1
	v_add_u32_e32 v20, v20, v13
	v_add_u32_e32 v21, v12, v17
	s_branch .LBB6_13
.LBB6_11:                               ;   in Loop: Header=BB6_13 Depth=1
	s_or_b64 exec, exec, s[22:23]
.LBB6_12:                               ;   in Loop: Header=BB6_13 Depth=1
	s_or_b64 exec, exec, s[12:13]
	s_add_u32 s38, s38, 1
	s_addc_u32 s39, s39, 0
	v_mov_b64_e32 v[12:13], s[34:35]
	v_cmp_ge_i64_e32 vcc, s[38:39], v[12:13]
	s_barrier
	s_cbranch_vccnz .LBB6_28
.LBB6_13:                               ; =>This Loop Header: Depth=1
                                        ;     Child Loop BB6_23 Depth 2
                                        ;     Child Loop BB6_26 Depth 2
	s_and_saveexec_b64 s[12:13], s[4:5]
	s_cbranch_execz .LBB6_18
; %bb.14:                               ;   in Loop: Header=BB6_13 Depth=1
	s_lshl_b64 s[22:23], s[38:39], 2
	s_add_u32 s22, s20, s22
	s_addc_u32 s23, s21, s23
	s_load_dword s19, s[22:23], 0x0
	s_waitcnt lgkmcnt(0)
	s_sub_i32 s19, s19, s17
	s_mul_i32 s19, s19, s3
	v_add_u32_e32 v14, s19, v16
	v_ashrrev_i32_e32 v15, 31, v14
	v_mul_lo_u32 v22, s27, v14
	v_mad_u64_u32 v[12:13], s[22:23], s26, v14, 0
	v_mul_lo_u32 v23, s26, v15
	v_add3_u32 v13, v13, v23, v22
	v_lshl_add_u64 v[12:13], v[12:13], 2, s[24:25]
	v_lshl_add_u64 v[14:15], v[14:15], 2, s[24:25]
	s_and_saveexec_b64 s[22:23], s[6:7]
	s_cbranch_execz .LBB6_16
; %bb.15:                               ;   in Loop: Header=BB6_13 Depth=1
	v_lshl_add_u64 v[22:23], v[4:5], 2, v[12:13]
	v_lshl_add_u64 v[24:25], v[6:7], 2, v[14:15]
	v_cndmask_b32_e64 v23, v23, v25, s[10:11]
	v_cndmask_b32_e64 v22, v22, v24, s[10:11]
	global_load_dword v22, v[22:23], off
	s_waitcnt vmcnt(0)
	ds_write_b32 v21, v22
.LBB6_16:                               ;   in Loop: Header=BB6_13 Depth=1
	s_or_b64 exec, exec, s[22:23]
	s_and_b64 exec, exec, s[8:9]
	s_cbranch_execz .LBB6_18
; %bb.17:                               ;   in Loop: Header=BB6_13 Depth=1
	v_lshl_add_u64 v[14:15], v[8:9], 2, v[14:15]
	v_lshl_add_u64 v[12:13], v[2:3], 2, v[12:13]
	v_cndmask_b32_e64 v13, v13, v15, s[10:11]
	v_cndmask_b32_e64 v12, v12, v14, s[10:11]
	global_load_dword v12, v[12:13], off
	s_waitcnt vmcnt(0)
	ds_write_b32 v21, v12 offset:1024
.LBB6_18:                               ;   in Loop: Header=BB6_13 Depth=1
	s_or_b64 exec, exec, s[12:13]
	s_and_saveexec_b64 s[12:13], s[40:41]
	s_cbranch_execz .LBB6_20
; %bb.19:                               ;   in Loop: Header=BB6_13 Depth=1
	s_mul_i32 s19, s39, s14
	s_mul_hi_u32 s22, s38, s14
	s_add_i32 s23, s22, s19
	s_mul_i32 s22, s38, s14
	v_lshl_add_u64 v[12:13], s[22:23], 2, v[10:11]
	global_load_dword v12, v[12:13], off
	s_waitcnt vmcnt(0)
	ds_write_b32 v20, v12
.LBB6_20:                               ;   in Loop: Header=BB6_13 Depth=1
	s_or_b64 exec, exec, s[12:13]
	s_waitcnt lgkmcnt(0)
	s_barrier
	s_and_saveexec_b64 s[12:13], s[4:5]
	s_cbranch_execz .LBB6_12
; %bb.21:                               ;   in Loop: Header=BB6_13 Depth=1
	s_and_saveexec_b64 s[22:23], s[6:7]
	s_cbranch_execz .LBB6_24
; %bb.22:                               ;   in Loop: Header=BB6_13 Depth=1
	v_mov_b32_e32 v12, v18
	v_mov_b32_e32 v13, v17
	s_mov_b32 s19, s3
.LBB6_23:                               ;   Parent Loop BB6_13 Depth=1
                                        ; =>  This Inner Loop Header: Depth=2
	ds_read_b32 v14, v12
	ds_read_b32 v15, v13
	s_add_i32 s19, s19, -1
	v_add_u32_e32 v13, 4, v13
	v_add_u32_e32 v12, 4, v12
	s_cmp_lg_u32 s19, 0
	s_waitcnt lgkmcnt(0)
	v_fma_f32 v0, v14, v15, v0
	s_cbranch_scc1 .LBB6_23
.LBB6_24:                               ;   in Loop: Header=BB6_13 Depth=1
	s_or_b64 exec, exec, s[22:23]
	s_and_saveexec_b64 s[22:23], s[8:9]
	s_cbranch_execz .LBB6_11
; %bb.25:                               ;   in Loop: Header=BB6_13 Depth=1
	v_mov_b32_e32 v12, v18
	s_mov_b32 s19, s3
	v_mov_b32_e32 v13, v19
.LBB6_26:                               ;   Parent Loop BB6_13 Depth=1
                                        ; =>  This Inner Loop Header: Depth=2
	ds_read_b32 v14, v12
	ds_read_b32 v15, v13
	s_add_i32 s19, s19, -1
	v_add_u32_e32 v13, 4, v13
	v_add_u32_e32 v12, 4, v12
	s_cmp_lg_u32 s19, 0
	s_waitcnt lgkmcnt(0)
	v_fma_f32 v1, v14, v15, v1
	s_cbranch_scc1 .LBB6_26
	s_branch .LBB6_11
.LBB6_27:
	v_mov_b32_e32 v0, 0
	v_mov_b32_e32 v1, v0
.LBB6_28:
	s_and_b64 s[4:5], s[30:31], s[4:5]
	s_and_saveexec_b64 s[6:7], s[4:5]
	s_cbranch_execz .LBB6_48
; %bb.29:
	s_mul_i32 s2, s3, s2
	v_add_u32_e32 v6, s2, v16
	s_load_dwordx2 s[2:3], s[0:1], 0x70
	v_ashrrev_i32_e32 v7, 31, v6
	s_cmp_lg_u32 s16, 1
	v_cmp_neq_f32_e64 s[0:1], s28, 0
	s_cselect_b64 s[4:5], -1, 0
	s_waitcnt lgkmcnt(0)
	v_mul_lo_u32 v3, s2, v7
	v_mul_lo_u32 v5, s3, v6
	v_mad_u64_u32 v[8:9], s[6:7], s2, v6, 0
	v_add3_u32 v9, v9, v3, v5
	v_lshl_add_u64 v[8:9], v[8:9], 2, s[36:37]
	v_lshl_add_u64 v[6:7], v[6:7], 2, s[36:37]
	v_cmp_gt_i32_e32 vcc, s15, v4
	s_and_saveexec_b64 s[6:7], vcc
	s_cbranch_execz .LBB6_41
; %bb.30:
	s_and_b64 vcc, exec, s[0:1]
	v_ashrrev_i32_e32 v5, 31, v4
	s_mov_b64 s[8:9], -1
	s_cbranch_vccz .LBB6_36
; %bb.31:
	s_and_b64 vcc, exec, s[4:5]
	s_cbranch_vccz .LBB6_33
; %bb.32:
	v_lshl_add_u64 v[10:11], v[4:5], 2, v[8:9]
	global_load_dword v3, v[10:11], off
	v_mul_f32_e32 v12, s18, v0
	s_mov_b64 s[8:9], 0
	s_waitcnt vmcnt(0)
	v_fmac_f32_e32 v12, s28, v3
	global_store_dword v[10:11], v12, off
.LBB6_33:
	s_andn2_b64 vcc, exec, s[8:9]
	s_cbranch_vccnz .LBB6_35
; %bb.34:
	v_mul_lo_u32 v3, s3, v4
	v_mul_lo_u32 v12, s2, v5
	v_mad_u64_u32 v[10:11], s[8:9], s2, v4, 0
	v_add3_u32 v11, v11, v12, v3
	v_lshl_add_u64 v[10:11], v[10:11], 2, v[6:7]
	global_load_dword v3, v[10:11], off
	v_mul_f32_e32 v12, s18, v0
	s_waitcnt vmcnt(0)
	v_fmac_f32_e32 v12, s28, v3
	global_store_dword v[10:11], v12, off
.LBB6_35:
	s_mov_b64 s[8:9], 0
.LBB6_36:
	s_andn2_b64 vcc, exec, s[8:9]
	s_cbranch_vccnz .LBB6_41
; %bb.37:
	v_mul_f32_e32 v0, s18, v0
	s_mov_b64 s[8:9], -1
	s_and_b64 vcc, exec, s[4:5]
	s_cbranch_vccz .LBB6_39
; %bb.38:
	v_lshl_add_u64 v[10:11], v[4:5], 2, v[8:9]
	global_store_dword v[10:11], v0, off
	s_mov_b64 s[8:9], 0
.LBB6_39:
	s_andn2_b64 vcc, exec, s[8:9]
	s_cbranch_vccnz .LBB6_41
; %bb.40:
	v_mul_lo_u32 v3, s3, v4
	v_mul_lo_u32 v10, s2, v5
	v_mad_u64_u32 v[4:5], s[8:9], s2, v4, 0
	v_add3_u32 v5, v5, v10, v3
	v_lshl_add_u64 v[4:5], v[4:5], 2, v[6:7]
	global_store_dword v[4:5], v0, off
.LBB6_41:
	s_or_b64 exec, exec, s[6:7]
	v_cmp_gt_i32_e32 vcc, s15, v2
	s_and_b64 exec, exec, vcc
	s_cbranch_execz .LBB6_48
; %bb.42:
	v_cndmask_b32_e64 v0, 0, 1, s[4:5]
	s_andn2_b64 vcc, exec, s[0:1]
	v_ashrrev_i32_e32 v3, 31, v2
	v_cmp_ne_u32_e64 s[0:1], 1, v0
	s_cbranch_vccnz .LBB6_49
; %bb.43:
	s_and_b64 vcc, exec, s[0:1]
	s_mov_b64 s[4:5], -1
	s_cbranch_vccnz .LBB6_45
; %bb.44:
	v_lshl_add_u64 v[4:5], v[2:3], 2, v[8:9]
	global_load_dword v0, v[4:5], off
	v_mul_f32_e32 v10, s18, v1
	s_mov_b64 s[4:5], 0
	s_waitcnt vmcnt(0)
	v_fmac_f32_e32 v10, s28, v0
	global_store_dword v[4:5], v10, off
.LBB6_45:
	s_andn2_b64 vcc, exec, s[4:5]
	s_cbranch_vccnz .LBB6_47
; %bb.46:
	v_mul_lo_u32 v0, s3, v2
	v_mul_lo_u32 v10, s2, v3
	v_mad_u64_u32 v[4:5], s[4:5], s2, v2, 0
	v_add3_u32 v5, v5, v10, v0
	v_lshl_add_u64 v[4:5], v[4:5], 2, v[6:7]
	global_load_dword v0, v[4:5], off
	v_mul_f32_e32 v10, s18, v1
	s_waitcnt vmcnt(0)
	v_fmac_f32_e32 v10, s28, v0
	global_store_dword v[4:5], v10, off
.LBB6_47:
	s_cbranch_execz .LBB6_50
.LBB6_48:
	s_endpgm
.LBB6_49:
.LBB6_50:
	v_mul_f32_e32 v0, s18, v1
	s_and_b64 vcc, exec, s[0:1]
	s_mov_b64 s[0:1], -1
	s_cbranch_vccnz .LBB6_52
; %bb.51:
	v_lshl_add_u64 v[4:5], v[2:3], 2, v[8:9]
	s_mov_b64 s[0:1], 0
	global_store_dword v[4:5], v0, off
.LBB6_52:
	s_andn2_b64 vcc, exec, s[0:1]
	s_cbranch_vccnz .LBB6_48
; %bb.53:
	v_mul_lo_u32 v1, s3, v2
	v_mul_lo_u32 v4, s2, v3
	v_mad_u64_u32 v[2:3], s[0:1], s2, v2, 0
	v_add3_u32 v3, v3, v4, v1
	v_lshl_add_u64 v[2:3], v[2:3], 2, v[6:7]
	global_store_dword v[2:3], v0, off
	s_endpgm
	.section	.rodata,"a",@progbits
	.p2align	6, 0x0
	.amdhsa_kernel _ZN9rocsparseL31bsrmm_large_blockdim_kernel_extILj16ELj16ELj2EliffffEEvb20rocsparse_direction_T3_S2_llNS_24const_host_device_scalarIT7_EEPKT2_PKS2_PKT4_S2_PKT5_llS5_PT6_ll16rocsparse_order_21rocsparse_index_base_b
		.amdhsa_group_segment_fixed_size 3072
		.amdhsa_private_segment_fixed_size 0
		.amdhsa_kernarg_size 140
		.amdhsa_user_sgpr_count 2
		.amdhsa_user_sgpr_dispatch_ptr 0
		.amdhsa_user_sgpr_queue_ptr 0
		.amdhsa_user_sgpr_kernarg_segment_ptr 1
		.amdhsa_user_sgpr_dispatch_id 0
		.amdhsa_user_sgpr_kernarg_preload_length 0
		.amdhsa_user_sgpr_kernarg_preload_offset 0
		.amdhsa_user_sgpr_private_segment_size 0
		.amdhsa_uses_dynamic_stack 0
		.amdhsa_enable_private_segment 0
		.amdhsa_system_sgpr_workgroup_id_x 1
		.amdhsa_system_sgpr_workgroup_id_y 1
		.amdhsa_system_sgpr_workgroup_id_z 0
		.amdhsa_system_sgpr_workgroup_info 0
		.amdhsa_system_vgpr_workitem_id 1
		.amdhsa_next_free_vgpr 26
		.amdhsa_next_free_sgpr 42
		.amdhsa_accum_offset 28
		.amdhsa_reserve_vcc 1
		.amdhsa_float_round_mode_32 0
		.amdhsa_float_round_mode_16_64 0
		.amdhsa_float_denorm_mode_32 3
		.amdhsa_float_denorm_mode_16_64 3
		.amdhsa_dx10_clamp 1
		.amdhsa_ieee_mode 1
		.amdhsa_fp16_overflow 0
		.amdhsa_tg_split 0
		.amdhsa_exception_fp_ieee_invalid_op 0
		.amdhsa_exception_fp_denorm_src 0
		.amdhsa_exception_fp_ieee_div_zero 0
		.amdhsa_exception_fp_ieee_overflow 0
		.amdhsa_exception_fp_ieee_underflow 0
		.amdhsa_exception_fp_ieee_inexact 0
		.amdhsa_exception_int_div_zero 0
	.end_amdhsa_kernel
	.section	.text._ZN9rocsparseL31bsrmm_large_blockdim_kernel_extILj16ELj16ELj2EliffffEEvb20rocsparse_direction_T3_S2_llNS_24const_host_device_scalarIT7_EEPKT2_PKS2_PKT4_S2_PKT5_llS5_PT6_ll16rocsparse_order_21rocsparse_index_base_b,"axG",@progbits,_ZN9rocsparseL31bsrmm_large_blockdim_kernel_extILj16ELj16ELj2EliffffEEvb20rocsparse_direction_T3_S2_llNS_24const_host_device_scalarIT7_EEPKT2_PKS2_PKT4_S2_PKT5_llS5_PT6_ll16rocsparse_order_21rocsparse_index_base_b,comdat
.Lfunc_end6:
	.size	_ZN9rocsparseL31bsrmm_large_blockdim_kernel_extILj16ELj16ELj2EliffffEEvb20rocsparse_direction_T3_S2_llNS_24const_host_device_scalarIT7_EEPKT2_PKS2_PKT4_S2_PKT5_llS5_PT6_ll16rocsparse_order_21rocsparse_index_base_b, .Lfunc_end6-_ZN9rocsparseL31bsrmm_large_blockdim_kernel_extILj16ELj16ELj2EliffffEEvb20rocsparse_direction_T3_S2_llNS_24const_host_device_scalarIT7_EEPKT2_PKS2_PKT4_S2_PKT5_llS5_PT6_ll16rocsparse_order_21rocsparse_index_base_b
                                        ; -- End function
	.set _ZN9rocsparseL31bsrmm_large_blockdim_kernel_extILj16ELj16ELj2EliffffEEvb20rocsparse_direction_T3_S2_llNS_24const_host_device_scalarIT7_EEPKT2_PKS2_PKT4_S2_PKT5_llS5_PT6_ll16rocsparse_order_21rocsparse_index_base_b.num_vgpr, 26
	.set _ZN9rocsparseL31bsrmm_large_blockdim_kernel_extILj16ELj16ELj2EliffffEEvb20rocsparse_direction_T3_S2_llNS_24const_host_device_scalarIT7_EEPKT2_PKS2_PKT4_S2_PKT5_llS5_PT6_ll16rocsparse_order_21rocsparse_index_base_b.num_agpr, 0
	.set _ZN9rocsparseL31bsrmm_large_blockdim_kernel_extILj16ELj16ELj2EliffffEEvb20rocsparse_direction_T3_S2_llNS_24const_host_device_scalarIT7_EEPKT2_PKS2_PKT4_S2_PKT5_llS5_PT6_ll16rocsparse_order_21rocsparse_index_base_b.numbered_sgpr, 42
	.set _ZN9rocsparseL31bsrmm_large_blockdim_kernel_extILj16ELj16ELj2EliffffEEvb20rocsparse_direction_T3_S2_llNS_24const_host_device_scalarIT7_EEPKT2_PKS2_PKT4_S2_PKT5_llS5_PT6_ll16rocsparse_order_21rocsparse_index_base_b.num_named_barrier, 0
	.set _ZN9rocsparseL31bsrmm_large_blockdim_kernel_extILj16ELj16ELj2EliffffEEvb20rocsparse_direction_T3_S2_llNS_24const_host_device_scalarIT7_EEPKT2_PKS2_PKT4_S2_PKT5_llS5_PT6_ll16rocsparse_order_21rocsparse_index_base_b.private_seg_size, 0
	.set _ZN9rocsparseL31bsrmm_large_blockdim_kernel_extILj16ELj16ELj2EliffffEEvb20rocsparse_direction_T3_S2_llNS_24const_host_device_scalarIT7_EEPKT2_PKS2_PKT4_S2_PKT5_llS5_PT6_ll16rocsparse_order_21rocsparse_index_base_b.uses_vcc, 1
	.set _ZN9rocsparseL31bsrmm_large_blockdim_kernel_extILj16ELj16ELj2EliffffEEvb20rocsparse_direction_T3_S2_llNS_24const_host_device_scalarIT7_EEPKT2_PKS2_PKT4_S2_PKT5_llS5_PT6_ll16rocsparse_order_21rocsparse_index_base_b.uses_flat_scratch, 0
	.set _ZN9rocsparseL31bsrmm_large_blockdim_kernel_extILj16ELj16ELj2EliffffEEvb20rocsparse_direction_T3_S2_llNS_24const_host_device_scalarIT7_EEPKT2_PKS2_PKT4_S2_PKT5_llS5_PT6_ll16rocsparse_order_21rocsparse_index_base_b.has_dyn_sized_stack, 0
	.set _ZN9rocsparseL31bsrmm_large_blockdim_kernel_extILj16ELj16ELj2EliffffEEvb20rocsparse_direction_T3_S2_llNS_24const_host_device_scalarIT7_EEPKT2_PKS2_PKT4_S2_PKT5_llS5_PT6_ll16rocsparse_order_21rocsparse_index_base_b.has_recursion, 0
	.set _ZN9rocsparseL31bsrmm_large_blockdim_kernel_extILj16ELj16ELj2EliffffEEvb20rocsparse_direction_T3_S2_llNS_24const_host_device_scalarIT7_EEPKT2_PKS2_PKT4_S2_PKT5_llS5_PT6_ll16rocsparse_order_21rocsparse_index_base_b.has_indirect_call, 0
	.section	.AMDGPU.csdata,"",@progbits
; Kernel info:
; codeLenInByte = 1680
; TotalNumSgprs: 48
; NumVgprs: 26
; NumAgprs: 0
; TotalNumVgprs: 26
; ScratchSize: 0
; MemoryBound: 0
; FloatMode: 240
; IeeeMode: 1
; LDSByteSize: 3072 bytes/workgroup (compile time only)
; SGPRBlocks: 5
; VGPRBlocks: 3
; NumSGPRsForWavesPerEU: 48
; NumVGPRsForWavesPerEU: 26
; AccumOffset: 28
; Occupancy: 8
; WaveLimiterHint : 1
; COMPUTE_PGM_RSRC2:SCRATCH_EN: 0
; COMPUTE_PGM_RSRC2:USER_SGPR: 2
; COMPUTE_PGM_RSRC2:TRAP_HANDLER: 0
; COMPUTE_PGM_RSRC2:TGID_X_EN: 1
; COMPUTE_PGM_RSRC2:TGID_Y_EN: 1
; COMPUTE_PGM_RSRC2:TGID_Z_EN: 0
; COMPUTE_PGM_RSRC2:TIDIG_COMP_CNT: 1
; COMPUTE_PGM_RSRC3_GFX90A:ACCUM_OFFSET: 6
; COMPUTE_PGM_RSRC3_GFX90A:TG_SPLIT: 0
	.section	.text._ZN9rocsparseL31bsrmm_large_blockdim_kernel_extILj32ELj32ELj2EliffffEEvb20rocsparse_direction_T3_S2_llNS_24const_host_device_scalarIT7_EEPKT2_PKS2_PKT4_S2_PKT5_llS5_PT6_ll16rocsparse_order_21rocsparse_index_base_b,"axG",@progbits,_ZN9rocsparseL31bsrmm_large_blockdim_kernel_extILj32ELj32ELj2EliffffEEvb20rocsparse_direction_T3_S2_llNS_24const_host_device_scalarIT7_EEPKT2_PKS2_PKT4_S2_PKT5_llS5_PT6_ll16rocsparse_order_21rocsparse_index_base_b,comdat
	.globl	_ZN9rocsparseL31bsrmm_large_blockdim_kernel_extILj32ELj32ELj2EliffffEEvb20rocsparse_direction_T3_S2_llNS_24const_host_device_scalarIT7_EEPKT2_PKS2_PKT4_S2_PKT5_llS5_PT6_ll16rocsparse_order_21rocsparse_index_base_b ; -- Begin function _ZN9rocsparseL31bsrmm_large_blockdim_kernel_extILj32ELj32ELj2EliffffEEvb20rocsparse_direction_T3_S2_llNS_24const_host_device_scalarIT7_EEPKT2_PKS2_PKT4_S2_PKT5_llS5_PT6_ll16rocsparse_order_21rocsparse_index_base_b
	.p2align	8
	.type	_ZN9rocsparseL31bsrmm_large_blockdim_kernel_extILj32ELj32ELj2EliffffEEvb20rocsparse_direction_T3_S2_llNS_24const_host_device_scalarIT7_EEPKT2_PKS2_PKT4_S2_PKT5_llS5_PT6_ll16rocsparse_order_21rocsparse_index_base_b,@function
_ZN9rocsparseL31bsrmm_large_blockdim_kernel_extILj32ELj32ELj2EliffffEEvb20rocsparse_direction_T3_S2_llNS_24const_host_device_scalarIT7_EEPKT2_PKS2_PKT4_S2_PKT5_llS5_PT6_ll16rocsparse_order_21rocsparse_index_base_b: ; @_ZN9rocsparseL31bsrmm_large_blockdim_kernel_extILj32ELj32ELj2EliffffEEvb20rocsparse_direction_T3_S2_llNS_24const_host_device_scalarIT7_EEPKT2_PKS2_PKT4_S2_PKT5_llS5_PT6_ll16rocsparse_order_21rocsparse_index_base_b
; %bb.0:
	s_load_dwordx4 s[16:19], s[0:1], 0x80
	s_mov_b32 s4, s3
	s_waitcnt lgkmcnt(0)
	s_bitcmp1_b32 s18, 0
	s_load_dwordx2 s[18:19], s[0:1], 0x20
	s_load_dwordx2 s[28:29], s[0:1], 0x60
	s_cselect_b64 s[8:9], -1, 0
	s_xor_b64 s[6:7], s[8:9], -1
	s_and_b64 vcc, exec, s[8:9]
	s_cbranch_vccnz .LBB7_2
; %bb.1:
	s_waitcnt lgkmcnt(0)
	s_load_dword s18, s[18:19], 0x0
.LBB7_2:
	s_andn2_b64 vcc, exec, s[6:7]
	s_cbranch_vccnz .LBB7_4
; %bb.3:
	s_waitcnt lgkmcnt(0)
	s_load_dword s28, s[28:29], 0x0
.LBB7_4:
	s_waitcnt lgkmcnt(0)
	v_cmp_eq_f32_e64 s[6:7], s18, 0
	v_cmp_eq_f32_e64 s[8:9], s28, 1.0
	s_and_b64 s[6:7], s[6:7], s[8:9]
	s_and_b64 vcc, exec, s[6:7]
	s_cbranch_vccnz .LBB7_48
; %bb.5:
	s_load_dwordx4 s[12:15], s[0:1], 0x0
	s_load_dwordx2 s[6:7], s[0:1], 0x28
	s_mov_b64 s[40:41], 0
	s_mov_b64 s[36:37], 0
	s_waitcnt lgkmcnt(0)
	s_cmp_lt_i32 s2, s14
	s_cselect_b64 s[30:31], -1, 0
	s_cmp_ge_i32 s2, s14
	s_cbranch_scc1 .LBB7_7
; %bb.6:
	s_ashr_i32 s3, s2, 31
	s_lshl_b64 s[8:9], s[2:3], 3
	s_add_u32 s8, s6, s8
	s_addc_u32 s9, s7, s9
	s_load_dwordx2 s[8:9], s[8:9], 0x0
	s_waitcnt lgkmcnt(0)
	s_sub_u32 s36, s8, s17
	s_subb_u32 s37, s9, 0
.LBB7_7:
	s_andn2_b64 vcc, exec, s[30:31]
	s_cbranch_vccnz .LBB7_9
; %bb.8:
	s_ashr_i32 s3, s2, 31
	s_lshl_b64 s[8:9], s[2:3], 3
	s_add_u32 s6, s6, s8
	s_addc_u32 s7, s7, s9
	s_load_dwordx2 s[6:7], s[6:7], 0x8
	s_waitcnt lgkmcnt(0)
	s_sub_u32 s40, s6, s17
	s_subb_u32 s41, s7, 0
.LBB7_9:
	s_load_dwordx2 s[34:35], s[0:1], 0x68
	s_load_dword s3, s[0:1], 0x40
	v_bfe_u32 v1, v0, 10, 10
	v_lshl_add_u32 v4, s4, 6, v1
	v_mov_b64_e32 v[6:7], s[40:41]
	v_add_u32_e32 v2, 32, v4
	v_and_b32_e32 v18, 0x3ff, v0
	v_cmp_ge_i64_e32 vcc, s[36:37], v[6:7]
	s_waitcnt lgkmcnt(0)
	v_cmp_gt_i32_e64 s[4:5], s3, v18
	v_cmp_gt_i32_e64 s[6:7], s15, v4
	;; [unrolled: 1-line block ×3, first 2 shown]
	s_cbranch_vccnz .LBB7_27
; %bb.10:
	s_load_dwordx4 s[20:23], s[0:1], 0x30
	s_load_dwordx4 s[24:27], s[0:1], 0x48
	v_cmp_gt_i32_e32 vcc, s3, v1
	v_lshlrev_b32_e32 v6, 2, v1
	v_lshlrev_b32_e32 v19, 7, v1
	v_mul_lo_u32 v0, s3, v1
	v_mov_b32_e32 v1, 0
	s_and_b64 s[38:39], s[4:5], vcc
	v_lshlrev_b32_e32 v12, 2, v18
	s_waitcnt lgkmcnt(0)
	v_lshl_add_u64 v[8:9], v[0:1], 2, s[22:23]
	v_mov_b32_e32 v13, v1
	v_mul_lo_u32 v0, s3, v18
	s_bitcmp1_b32 s12, 0
	v_lshl_add_u64 v[10:11], v[8:9], 0, v[12:13]
	v_lshl_add_u64 v[8:9], v[0:1], 2, s[22:23]
	v_mov_b32_e32 v7, v1
	v_ashrrev_i32_e32 v5, 31, v4
	s_cselect_b64 s[10:11], -1, 0
	v_or_b32_e32 v16, 0x2000, v6
	s_cmp_eq_u32 s13, 0
	v_lshl_add_u64 v[14:15], v[8:9], 0, v[6:7]
	v_mul_lo_u32 v0, s27, v4
	v_mul_lo_u32 v3, s26, v5
	v_mad_u64_u32 v[6:7], s[12:13], s26, v4, 0
	v_add3_u32 v7, v7, v3, v0
	v_ashrrev_i32_e32 v3, 31, v2
	v_lshlrev_b32_e32 v13, 7, v18
	v_mul_lo_u32 v0, s27, v2
	v_mul_lo_u32 v17, s26, v3
	v_mad_u64_u32 v[8:9], s[12:13], s26, v2, 0
	s_cselect_b64 vcc, -1, 0
	s_mul_i32 s14, s3, s3
	v_add3_u32 v9, v9, v17, v0
	v_cndmask_b32_e32 v11, v11, v15, vcc
	v_cndmask_b32_e32 v10, v10, v14, vcc
	v_add_u32_e32 v20, 0x2000, v13
	v_add_u32_e32 v21, 0x1000, v19
	v_mov_b32_e32 v0, v1
	v_add_u32_e32 v22, v12, v19
	v_add_u32_e32 v23, v16, v13
	v_mov_b64_e32 v[12:13], s[40:41]
	s_branch .LBB7_13
.LBB7_11:                               ;   in Loop: Header=BB7_13 Depth=1
	s_or_b64 exec, exec, s[22:23]
.LBB7_12:                               ;   in Loop: Header=BB7_13 Depth=1
	s_or_b64 exec, exec, s[12:13]
	s_add_u32 s36, s36, 1
	s_addc_u32 s37, s37, 0
	v_cmp_ge_i64_e32 vcc, s[36:37], v[12:13]
	s_barrier
	s_cbranch_vccnz .LBB7_28
.LBB7_13:                               ; =>This Loop Header: Depth=1
                                        ;     Child Loop BB7_23 Depth 2
                                        ;     Child Loop BB7_26 Depth 2
	s_and_saveexec_b64 s[12:13], s[4:5]
	s_cbranch_execz .LBB7_18
; %bb.14:                               ;   in Loop: Header=BB7_13 Depth=1
	s_lshl_b64 s[22:23], s[36:37], 2
	s_add_u32 s22, s20, s22
	s_addc_u32 s23, s21, s23
	s_load_dword s19, s[22:23], 0x0
	s_waitcnt lgkmcnt(0)
	s_sub_i32 s19, s19, s17
	s_mul_i32 s19, s19, s3
	v_add_u32_e32 v16, s19, v18
	v_ashrrev_i32_e32 v17, 31, v16
	v_mul_lo_u32 v24, s27, v16
	v_mad_u64_u32 v[14:15], s[22:23], s26, v16, 0
	v_mul_lo_u32 v25, s26, v17
	v_add3_u32 v15, v15, v25, v24
	v_lshl_add_u64 v[14:15], v[14:15], 2, s[24:25]
	v_lshl_add_u64 v[16:17], v[16:17], 2, s[24:25]
	s_and_saveexec_b64 s[22:23], s[6:7]
	s_cbranch_execz .LBB7_16
; %bb.15:                               ;   in Loop: Header=BB7_13 Depth=1
	v_lshl_add_u64 v[24:25], v[4:5], 2, v[14:15]
	v_lshl_add_u64 v[26:27], v[6:7], 2, v[16:17]
	v_cndmask_b32_e64 v25, v25, v27, s[10:11]
	v_cndmask_b32_e64 v24, v24, v26, s[10:11]
	global_load_dword v24, v[24:25], off
	s_waitcnt vmcnt(0)
	ds_write_b32 v22, v24
.LBB7_16:                               ;   in Loop: Header=BB7_13 Depth=1
	s_or_b64 exec, exec, s[22:23]
	s_and_b64 exec, exec, s[8:9]
	s_cbranch_execz .LBB7_18
; %bb.17:                               ;   in Loop: Header=BB7_13 Depth=1
	v_lshl_add_u64 v[16:17], v[8:9], 2, v[16:17]
	v_lshl_add_u64 v[14:15], v[2:3], 2, v[14:15]
	v_cndmask_b32_e64 v15, v15, v17, s[10:11]
	v_cndmask_b32_e64 v14, v14, v16, s[10:11]
	global_load_dword v14, v[14:15], off
	s_waitcnt vmcnt(0)
	ds_write_b32 v22, v14 offset:4096
.LBB7_18:                               ;   in Loop: Header=BB7_13 Depth=1
	s_or_b64 exec, exec, s[12:13]
	s_and_saveexec_b64 s[12:13], s[38:39]
	s_cbranch_execz .LBB7_20
; %bb.19:                               ;   in Loop: Header=BB7_13 Depth=1
	s_mul_i32 s19, s37, s14
	s_mul_hi_u32 s22, s36, s14
	s_add_i32 s23, s22, s19
	s_mul_i32 s22, s36, s14
	v_lshl_add_u64 v[14:15], s[22:23], 2, v[10:11]
	global_load_dword v14, v[14:15], off
	s_waitcnt vmcnt(0)
	ds_write_b32 v23, v14
.LBB7_20:                               ;   in Loop: Header=BB7_13 Depth=1
	s_or_b64 exec, exec, s[12:13]
	s_waitcnt lgkmcnt(0)
	s_barrier
	s_and_saveexec_b64 s[12:13], s[4:5]
	s_cbranch_execz .LBB7_12
; %bb.21:                               ;   in Loop: Header=BB7_13 Depth=1
	s_and_saveexec_b64 s[22:23], s[6:7]
	s_cbranch_execz .LBB7_24
; %bb.22:                               ;   in Loop: Header=BB7_13 Depth=1
	v_mov_b32_e32 v14, v20
	v_mov_b32_e32 v15, v19
	s_mov_b32 s19, s3
.LBB7_23:                               ;   Parent Loop BB7_13 Depth=1
                                        ; =>  This Inner Loop Header: Depth=2
	ds_read_b32 v16, v14
	ds_read_b32 v17, v15
	s_add_i32 s19, s19, -1
	v_add_u32_e32 v15, 4, v15
	v_add_u32_e32 v14, 4, v14
	s_cmp_lg_u32 s19, 0
	s_waitcnt lgkmcnt(0)
	v_fma_f32 v0, v16, v17, v0
	s_cbranch_scc1 .LBB7_23
.LBB7_24:                               ;   in Loop: Header=BB7_13 Depth=1
	s_or_b64 exec, exec, s[22:23]
	s_and_saveexec_b64 s[22:23], s[8:9]
	s_cbranch_execz .LBB7_11
; %bb.25:                               ;   in Loop: Header=BB7_13 Depth=1
	v_mov_b32_e32 v14, v20
	s_mov_b32 s19, s3
	v_mov_b32_e32 v15, v21
.LBB7_26:                               ;   Parent Loop BB7_13 Depth=1
                                        ; =>  This Inner Loop Header: Depth=2
	ds_read_b32 v16, v14
	ds_read_b32 v17, v15
	s_add_i32 s19, s19, -1
	v_add_u32_e32 v15, 4, v15
	v_add_u32_e32 v14, 4, v14
	s_cmp_lg_u32 s19, 0
	s_waitcnt lgkmcnt(0)
	v_fma_f32 v1, v16, v17, v1
	s_cbranch_scc1 .LBB7_26
	s_branch .LBB7_11
.LBB7_27:
	v_mov_b32_e32 v0, 0
	v_mov_b32_e32 v1, v0
.LBB7_28:
	s_and_b64 s[4:5], s[30:31], s[4:5]
	s_and_saveexec_b64 s[6:7], s[4:5]
	s_cbranch_execz .LBB7_48
; %bb.29:
	s_mul_i32 s2, s3, s2
	v_add_u32_e32 v6, s2, v18
	s_load_dwordx2 s[2:3], s[0:1], 0x70
	v_ashrrev_i32_e32 v7, 31, v6
	s_cmp_lg_u32 s16, 1
	v_cmp_neq_f32_e64 s[0:1], s28, 0
	s_cselect_b64 s[4:5], -1, 0
	s_waitcnt lgkmcnt(0)
	v_mul_lo_u32 v3, s2, v7
	v_mul_lo_u32 v5, s3, v6
	v_mad_u64_u32 v[8:9], s[6:7], s2, v6, 0
	v_add3_u32 v9, v9, v3, v5
	v_lshl_add_u64 v[8:9], v[8:9], 2, s[34:35]
	v_lshl_add_u64 v[6:7], v[6:7], 2, s[34:35]
	v_cmp_gt_i32_e32 vcc, s15, v4
	s_and_saveexec_b64 s[6:7], vcc
	s_cbranch_execz .LBB7_41
; %bb.30:
	s_and_b64 vcc, exec, s[0:1]
	v_ashrrev_i32_e32 v5, 31, v4
	s_mov_b64 s[8:9], -1
	s_cbranch_vccz .LBB7_36
; %bb.31:
	s_and_b64 vcc, exec, s[4:5]
	s_cbranch_vccz .LBB7_33
; %bb.32:
	v_lshl_add_u64 v[10:11], v[4:5], 2, v[8:9]
	global_load_dword v3, v[10:11], off
	v_mul_f32_e32 v12, s18, v0
	s_mov_b64 s[8:9], 0
	s_waitcnt vmcnt(0)
	v_fmac_f32_e32 v12, s28, v3
	global_store_dword v[10:11], v12, off
.LBB7_33:
	s_andn2_b64 vcc, exec, s[8:9]
	s_cbranch_vccnz .LBB7_35
; %bb.34:
	v_mul_lo_u32 v3, s3, v4
	v_mul_lo_u32 v12, s2, v5
	v_mad_u64_u32 v[10:11], s[8:9], s2, v4, 0
	v_add3_u32 v11, v11, v12, v3
	v_lshl_add_u64 v[10:11], v[10:11], 2, v[6:7]
	global_load_dword v3, v[10:11], off
	v_mul_f32_e32 v12, s18, v0
	s_waitcnt vmcnt(0)
	v_fmac_f32_e32 v12, s28, v3
	global_store_dword v[10:11], v12, off
.LBB7_35:
	s_mov_b64 s[8:9], 0
.LBB7_36:
	s_andn2_b64 vcc, exec, s[8:9]
	s_cbranch_vccnz .LBB7_41
; %bb.37:
	v_mul_f32_e32 v0, s18, v0
	s_mov_b64 s[8:9], -1
	s_and_b64 vcc, exec, s[4:5]
	s_cbranch_vccz .LBB7_39
; %bb.38:
	v_lshl_add_u64 v[10:11], v[4:5], 2, v[8:9]
	global_store_dword v[10:11], v0, off
	s_mov_b64 s[8:9], 0
.LBB7_39:
	s_andn2_b64 vcc, exec, s[8:9]
	s_cbranch_vccnz .LBB7_41
; %bb.40:
	v_mul_lo_u32 v3, s3, v4
	v_mul_lo_u32 v10, s2, v5
	v_mad_u64_u32 v[4:5], s[8:9], s2, v4, 0
	v_add3_u32 v5, v5, v10, v3
	v_lshl_add_u64 v[4:5], v[4:5], 2, v[6:7]
	global_store_dword v[4:5], v0, off
.LBB7_41:
	s_or_b64 exec, exec, s[6:7]
	v_cmp_gt_i32_e32 vcc, s15, v2
	s_and_b64 exec, exec, vcc
	s_cbranch_execz .LBB7_48
; %bb.42:
	v_cndmask_b32_e64 v0, 0, 1, s[4:5]
	s_andn2_b64 vcc, exec, s[0:1]
	v_ashrrev_i32_e32 v3, 31, v2
	v_cmp_ne_u32_e64 s[0:1], 1, v0
	s_cbranch_vccnz .LBB7_49
; %bb.43:
	s_and_b64 vcc, exec, s[0:1]
	s_mov_b64 s[4:5], -1
	s_cbranch_vccnz .LBB7_45
; %bb.44:
	v_lshl_add_u64 v[4:5], v[2:3], 2, v[8:9]
	global_load_dword v0, v[4:5], off
	v_mul_f32_e32 v10, s18, v1
	s_mov_b64 s[4:5], 0
	s_waitcnt vmcnt(0)
	v_fmac_f32_e32 v10, s28, v0
	global_store_dword v[4:5], v10, off
.LBB7_45:
	s_andn2_b64 vcc, exec, s[4:5]
	s_cbranch_vccnz .LBB7_47
; %bb.46:
	v_mul_lo_u32 v0, s3, v2
	v_mul_lo_u32 v10, s2, v3
	v_mad_u64_u32 v[4:5], s[4:5], s2, v2, 0
	v_add3_u32 v5, v5, v10, v0
	v_lshl_add_u64 v[4:5], v[4:5], 2, v[6:7]
	global_load_dword v0, v[4:5], off
	v_mul_f32_e32 v10, s18, v1
	s_waitcnt vmcnt(0)
	v_fmac_f32_e32 v10, s28, v0
	global_store_dword v[4:5], v10, off
.LBB7_47:
	s_cbranch_execz .LBB7_50
.LBB7_48:
	s_endpgm
.LBB7_49:
.LBB7_50:
	v_mul_f32_e32 v0, s18, v1
	s_and_b64 vcc, exec, s[0:1]
	s_mov_b64 s[0:1], -1
	s_cbranch_vccnz .LBB7_52
; %bb.51:
	v_lshl_add_u64 v[4:5], v[2:3], 2, v[8:9]
	s_mov_b64 s[0:1], 0
	global_store_dword v[4:5], v0, off
.LBB7_52:
	s_andn2_b64 vcc, exec, s[0:1]
	s_cbranch_vccnz .LBB7_48
; %bb.53:
	v_mul_lo_u32 v1, s3, v2
	v_mul_lo_u32 v4, s2, v3
	v_mad_u64_u32 v[2:3], s[0:1], s2, v2, 0
	v_add3_u32 v3, v3, v4, v1
	v_lshl_add_u64 v[2:3], v[2:3], 2, v[6:7]
	global_store_dword v[2:3], v0, off
	s_endpgm
	.section	.rodata,"a",@progbits
	.p2align	6, 0x0
	.amdhsa_kernel _ZN9rocsparseL31bsrmm_large_blockdim_kernel_extILj32ELj32ELj2EliffffEEvb20rocsparse_direction_T3_S2_llNS_24const_host_device_scalarIT7_EEPKT2_PKS2_PKT4_S2_PKT5_llS5_PT6_ll16rocsparse_order_21rocsparse_index_base_b
		.amdhsa_group_segment_fixed_size 12288
		.amdhsa_private_segment_fixed_size 0
		.amdhsa_kernarg_size 140
		.amdhsa_user_sgpr_count 2
		.amdhsa_user_sgpr_dispatch_ptr 0
		.amdhsa_user_sgpr_queue_ptr 0
		.amdhsa_user_sgpr_kernarg_segment_ptr 1
		.amdhsa_user_sgpr_dispatch_id 0
		.amdhsa_user_sgpr_kernarg_preload_length 0
		.amdhsa_user_sgpr_kernarg_preload_offset 0
		.amdhsa_user_sgpr_private_segment_size 0
		.amdhsa_uses_dynamic_stack 0
		.amdhsa_enable_private_segment 0
		.amdhsa_system_sgpr_workgroup_id_x 1
		.amdhsa_system_sgpr_workgroup_id_y 1
		.amdhsa_system_sgpr_workgroup_id_z 0
		.amdhsa_system_sgpr_workgroup_info 0
		.amdhsa_system_vgpr_workitem_id 1
		.amdhsa_next_free_vgpr 28
		.amdhsa_next_free_sgpr 42
		.amdhsa_accum_offset 28
		.amdhsa_reserve_vcc 1
		.amdhsa_float_round_mode_32 0
		.amdhsa_float_round_mode_16_64 0
		.amdhsa_float_denorm_mode_32 3
		.amdhsa_float_denorm_mode_16_64 3
		.amdhsa_dx10_clamp 1
		.amdhsa_ieee_mode 1
		.amdhsa_fp16_overflow 0
		.amdhsa_tg_split 0
		.amdhsa_exception_fp_ieee_invalid_op 0
		.amdhsa_exception_fp_denorm_src 0
		.amdhsa_exception_fp_ieee_div_zero 0
		.amdhsa_exception_fp_ieee_overflow 0
		.amdhsa_exception_fp_ieee_underflow 0
		.amdhsa_exception_fp_ieee_inexact 0
		.amdhsa_exception_int_div_zero 0
	.end_amdhsa_kernel
	.section	.text._ZN9rocsparseL31bsrmm_large_blockdim_kernel_extILj32ELj32ELj2EliffffEEvb20rocsparse_direction_T3_S2_llNS_24const_host_device_scalarIT7_EEPKT2_PKS2_PKT4_S2_PKT5_llS5_PT6_ll16rocsparse_order_21rocsparse_index_base_b,"axG",@progbits,_ZN9rocsparseL31bsrmm_large_blockdim_kernel_extILj32ELj32ELj2EliffffEEvb20rocsparse_direction_T3_S2_llNS_24const_host_device_scalarIT7_EEPKT2_PKS2_PKT4_S2_PKT5_llS5_PT6_ll16rocsparse_order_21rocsparse_index_base_b,comdat
.Lfunc_end7:
	.size	_ZN9rocsparseL31bsrmm_large_blockdim_kernel_extILj32ELj32ELj2EliffffEEvb20rocsparse_direction_T3_S2_llNS_24const_host_device_scalarIT7_EEPKT2_PKS2_PKT4_S2_PKT5_llS5_PT6_ll16rocsparse_order_21rocsparse_index_base_b, .Lfunc_end7-_ZN9rocsparseL31bsrmm_large_blockdim_kernel_extILj32ELj32ELj2EliffffEEvb20rocsparse_direction_T3_S2_llNS_24const_host_device_scalarIT7_EEPKT2_PKS2_PKT4_S2_PKT5_llS5_PT6_ll16rocsparse_order_21rocsparse_index_base_b
                                        ; -- End function
	.set _ZN9rocsparseL31bsrmm_large_blockdim_kernel_extILj32ELj32ELj2EliffffEEvb20rocsparse_direction_T3_S2_llNS_24const_host_device_scalarIT7_EEPKT2_PKS2_PKT4_S2_PKT5_llS5_PT6_ll16rocsparse_order_21rocsparse_index_base_b.num_vgpr, 28
	.set _ZN9rocsparseL31bsrmm_large_blockdim_kernel_extILj32ELj32ELj2EliffffEEvb20rocsparse_direction_T3_S2_llNS_24const_host_device_scalarIT7_EEPKT2_PKS2_PKT4_S2_PKT5_llS5_PT6_ll16rocsparse_order_21rocsparse_index_base_b.num_agpr, 0
	.set _ZN9rocsparseL31bsrmm_large_blockdim_kernel_extILj32ELj32ELj2EliffffEEvb20rocsparse_direction_T3_S2_llNS_24const_host_device_scalarIT7_EEPKT2_PKS2_PKT4_S2_PKT5_llS5_PT6_ll16rocsparse_order_21rocsparse_index_base_b.numbered_sgpr, 42
	.set _ZN9rocsparseL31bsrmm_large_blockdim_kernel_extILj32ELj32ELj2EliffffEEvb20rocsparse_direction_T3_S2_llNS_24const_host_device_scalarIT7_EEPKT2_PKS2_PKT4_S2_PKT5_llS5_PT6_ll16rocsparse_order_21rocsparse_index_base_b.num_named_barrier, 0
	.set _ZN9rocsparseL31bsrmm_large_blockdim_kernel_extILj32ELj32ELj2EliffffEEvb20rocsparse_direction_T3_S2_llNS_24const_host_device_scalarIT7_EEPKT2_PKS2_PKT4_S2_PKT5_llS5_PT6_ll16rocsparse_order_21rocsparse_index_base_b.private_seg_size, 0
	.set _ZN9rocsparseL31bsrmm_large_blockdim_kernel_extILj32ELj32ELj2EliffffEEvb20rocsparse_direction_T3_S2_llNS_24const_host_device_scalarIT7_EEPKT2_PKS2_PKT4_S2_PKT5_llS5_PT6_ll16rocsparse_order_21rocsparse_index_base_b.uses_vcc, 1
	.set _ZN9rocsparseL31bsrmm_large_blockdim_kernel_extILj32ELj32ELj2EliffffEEvb20rocsparse_direction_T3_S2_llNS_24const_host_device_scalarIT7_EEPKT2_PKS2_PKT4_S2_PKT5_llS5_PT6_ll16rocsparse_order_21rocsparse_index_base_b.uses_flat_scratch, 0
	.set _ZN9rocsparseL31bsrmm_large_blockdim_kernel_extILj32ELj32ELj2EliffffEEvb20rocsparse_direction_T3_S2_llNS_24const_host_device_scalarIT7_EEPKT2_PKS2_PKT4_S2_PKT5_llS5_PT6_ll16rocsparse_order_21rocsparse_index_base_b.has_dyn_sized_stack, 0
	.set _ZN9rocsparseL31bsrmm_large_blockdim_kernel_extILj32ELj32ELj2EliffffEEvb20rocsparse_direction_T3_S2_llNS_24const_host_device_scalarIT7_EEPKT2_PKS2_PKT4_S2_PKT5_llS5_PT6_ll16rocsparse_order_21rocsparse_index_base_b.has_recursion, 0
	.set _ZN9rocsparseL31bsrmm_large_blockdim_kernel_extILj32ELj32ELj2EliffffEEvb20rocsparse_direction_T3_S2_llNS_24const_host_device_scalarIT7_EEPKT2_PKS2_PKT4_S2_PKT5_llS5_PT6_ll16rocsparse_order_21rocsparse_index_base_b.has_indirect_call, 0
	.section	.AMDGPU.csdata,"",@progbits
; Kernel info:
; codeLenInByte = 1680
; TotalNumSgprs: 48
; NumVgprs: 28
; NumAgprs: 0
; TotalNumVgprs: 28
; ScratchSize: 0
; MemoryBound: 0
; FloatMode: 240
; IeeeMode: 1
; LDSByteSize: 12288 bytes/workgroup (compile time only)
; SGPRBlocks: 5
; VGPRBlocks: 3
; NumSGPRsForWavesPerEU: 48
; NumVGPRsForWavesPerEU: 28
; AccumOffset: 28
; Occupancy: 8
; WaveLimiterHint : 1
; COMPUTE_PGM_RSRC2:SCRATCH_EN: 0
; COMPUTE_PGM_RSRC2:USER_SGPR: 2
; COMPUTE_PGM_RSRC2:TRAP_HANDLER: 0
; COMPUTE_PGM_RSRC2:TGID_X_EN: 1
; COMPUTE_PGM_RSRC2:TGID_Y_EN: 1
; COMPUTE_PGM_RSRC2:TGID_Z_EN: 0
; COMPUTE_PGM_RSRC2:TIDIG_COMP_CNT: 1
; COMPUTE_PGM_RSRC3_GFX90A:ACCUM_OFFSET: 6
; COMPUTE_PGM_RSRC3_GFX90A:TG_SPLIT: 0
	.section	.text._ZN9rocsparseL31bsrmm_large_blockdim_kernel_extILj8ELj8ELj2EllffffEEvb20rocsparse_direction_T3_S2_llNS_24const_host_device_scalarIT7_EEPKT2_PKS2_PKT4_S2_PKT5_llS5_PT6_ll16rocsparse_order_21rocsparse_index_base_b,"axG",@progbits,_ZN9rocsparseL31bsrmm_large_blockdim_kernel_extILj8ELj8ELj2EllffffEEvb20rocsparse_direction_T3_S2_llNS_24const_host_device_scalarIT7_EEPKT2_PKS2_PKT4_S2_PKT5_llS5_PT6_ll16rocsparse_order_21rocsparse_index_base_b,comdat
	.globl	_ZN9rocsparseL31bsrmm_large_blockdim_kernel_extILj8ELj8ELj2EllffffEEvb20rocsparse_direction_T3_S2_llNS_24const_host_device_scalarIT7_EEPKT2_PKS2_PKT4_S2_PKT5_llS5_PT6_ll16rocsparse_order_21rocsparse_index_base_b ; -- Begin function _ZN9rocsparseL31bsrmm_large_blockdim_kernel_extILj8ELj8ELj2EllffffEEvb20rocsparse_direction_T3_S2_llNS_24const_host_device_scalarIT7_EEPKT2_PKS2_PKT4_S2_PKT5_llS5_PT6_ll16rocsparse_order_21rocsparse_index_base_b
	.p2align	8
	.type	_ZN9rocsparseL31bsrmm_large_blockdim_kernel_extILj8ELj8ELj2EllffffEEvb20rocsparse_direction_T3_S2_llNS_24const_host_device_scalarIT7_EEPKT2_PKS2_PKT4_S2_PKT5_llS5_PT6_ll16rocsparse_order_21rocsparse_index_base_b,@function
_ZN9rocsparseL31bsrmm_large_blockdim_kernel_extILj8ELj8ELj2EllffffEEvb20rocsparse_direction_T3_S2_llNS_24const_host_device_scalarIT7_EEPKT2_PKS2_PKT4_S2_PKT5_llS5_PT6_ll16rocsparse_order_21rocsparse_index_base_b: ; @_ZN9rocsparseL31bsrmm_large_blockdim_kernel_extILj8ELj8ELj2EllffffEEvb20rocsparse_direction_T3_S2_llNS_24const_host_device_scalarIT7_EEPKT2_PKS2_PKT4_S2_PKT5_llS5_PT6_ll16rocsparse_order_21rocsparse_index_base_b
; %bb.0:
	s_load_dwordx4 s[16:19], s[0:1], 0x88
	s_mov_b32 s6, s3
	s_waitcnt lgkmcnt(0)
	s_bitcmp1_b32 s18, 0
	s_load_dwordx2 s[18:19], s[0:1], 0x28
	s_load_dwordx2 s[28:29], s[0:1], 0x68
	s_cselect_b64 s[8:9], -1, 0
	s_xor_b64 s[4:5], s[8:9], -1
	s_and_b64 vcc, exec, s[8:9]
	s_cbranch_vccnz .LBB8_2
; %bb.1:
	s_waitcnt lgkmcnt(0)
	s_load_dword s18, s[18:19], 0x0
.LBB8_2:
	s_andn2_b64 vcc, exec, s[4:5]
	s_cbranch_vccnz .LBB8_4
; %bb.3:
	s_waitcnt lgkmcnt(0)
	s_load_dword s28, s[28:29], 0x0
.LBB8_4:
	s_waitcnt lgkmcnt(0)
	v_cmp_eq_f32_e64 s[4:5], s18, 0
	v_cmp_eq_f32_e64 s[8:9], s28, 1.0
	s_and_b64 s[4:5], s[4:5], s[8:9]
	s_and_b64 vcc, exec, s[4:5]
	s_cbranch_vccnz .LBB8_48
; %bb.5:
	s_load_dwordx4 s[12:15], s[0:1], 0x8
	s_load_dwordx2 s[8:9], s[0:1], 0x30
	s_ashr_i32 s3, s2, 31
	v_mov_b64_e32 v[2:3], s[2:3]
	s_mov_b64 s[34:35], 0
	s_waitcnt lgkmcnt(0)
	v_cmp_le_i64_e32 vcc, s[12:13], v[2:3]
	v_cmp_gt_i64_e64 s[4:5], s[12:13], v[2:3]
	s_mov_b64 s[36:37], 0
	s_cbranch_vccnz .LBB8_7
; %bb.6:
	s_lshl_b64 s[10:11], s[2:3], 3
	s_add_u32 s10, s8, s10
	s_addc_u32 s11, s9, s11
	s_load_dwordx2 s[10:11], s[10:11], 0x0
	s_waitcnt lgkmcnt(0)
	s_sub_u32 s36, s10, s17
	s_subb_u32 s37, s11, 0
.LBB8_7:
	s_andn2_b64 vcc, exec, s[4:5]
	s_cbranch_vccnz .LBB8_9
; %bb.8:
	s_lshl_b64 s[10:11], s[2:3], 3
	s_add_u32 s8, s8, s10
	s_addc_u32 s9, s9, s11
	s_load_dwordx2 s[8:9], s[8:9], 0x8
	s_waitcnt lgkmcnt(0)
	s_sub_u32 s34, s8, s17
	s_subb_u32 s35, s9, 0
.LBB8_9:
	s_load_dwordx2 s[30:31], s[0:1], 0x70
	s_load_dwordx2 s[38:39], s[0:1], 0x48
	v_bfe_u32 v10, v0, 10, 10
	v_lshl_add_u32 v4, s6, 4, v10
	v_mov_b32_e32 v5, 0
	v_and_b32_e32 v6, 0x3ff, v0
	v_mov_b64_e32 v[0:1], s[34:35]
	v_add_u32_e32 v2, 8, v4
	v_mov_b32_e32 v3, v5
	v_mov_b32_e32 v7, v5
	v_cmp_ge_i64_e32 vcc, s[36:37], v[0:1]
	s_waitcnt lgkmcnt(0)
	v_cmp_gt_i64_e64 s[6:7], s[38:39], v[6:7]
	v_cmp_gt_i64_e64 s[8:9], s[14:15], v[4:5]
	;; [unrolled: 1-line block ×3, first 2 shown]
	s_cbranch_vccnz .LBB8_27
; %bb.10:
	s_load_dwordx4 s[24:27], s[0:1], 0x38
	s_load_dwordx2 s[42:43], s[0:1], 0x0
	s_mul_i32 s3, s38, s39
	s_mul_hi_u32 s12, s38, s38
	v_mov_b32_e32 v11, v5
	s_add_i32 s12, s12, s3
	v_cmp_gt_i64_e32 vcc, s[38:39], v[10:11]
	s_add_i32 s3, s12, s3
	s_and_b64 s[40:41], s[6:7], vcc
	s_waitcnt lgkmcnt(0)
	s_bitcmp1_b32 s42, 0
	s_cselect_b64 s[12:13], -1, 0
	s_cmp_eq_u32 s43, 0
	v_mad_u64_u32 v[12:13], s[42:43], s38, v10, 0
	v_mov_b32_e32 v14, v13
	v_lshlrev_b32_e32 v0, 2, v10
	v_lshlrev_b32_e32 v20, 5, v10
	v_mad_u64_u32 v[10:11], s[42:43], s39, v10, v[14:15]
	v_mov_b32_e32 v13, v10
	v_lshlrev_b32_e32 v16, 2, v6
	v_mov_b32_e32 v17, v5
	v_lshl_add_u64 v[10:11], v[12:13], 2, s[26:27]
	s_load_dwordx4 s[20:23], s[0:1], 0x50
	v_lshl_add_u64 v[14:15], v[10:11], 0, v[16:17]
	v_mad_u64_u32 v[10:11], s[42:43], s38, v6, 0
	v_mov_b32_e32 v12, v11
	v_mad_u64_u32 v[12:13], s[42:43], s39, v6, v[12:13]
	v_mov_b32_e32 v11, v12
	v_lshl_add_u64 v[10:11], v[10:11], 2, s[26:27]
	v_mov_b32_e32 v1, v5
	v_add_u32_e32 v23, 0x200, v0
	v_lshl_add_u64 v[0:1], v[10:11], 0, v[0:1]
	s_waitcnt lgkmcnt(0)
	v_mad_u64_u32 v[10:11], s[26:27], s22, v4, 0
	v_mov_b32_e32 v12, v11
	v_mad_u64_u32 v[12:13], s[26:27], s23, v4, v[12:13]
	v_mov_b32_e32 v11, v12
	;; [unrolled: 2-line block ×3, first 2 shown]
	v_lshl_add_u64 v[8:9], s[20:21], 0, v[16:17]
	s_cselect_b64 vcc, -1, 0
	v_lshlrev_b32_e32 v17, 5, v6
	v_cmp_gt_i64_e64 s[42:43], s[38:39], 0
	v_mad_u64_u32 v[18:19], s[26:27], s23, v2, v[18:19]
	s_mul_i32 s19, s38, s38
	v_mov_b32_e32 v13, v18
	s_and_b64 s[26:27], s[8:9], s[42:43]
	s_and_b64 s[42:43], s[10:11], s[42:43]
	v_cndmask_b32_e32 v15, v15, v1, vcc
	v_cndmask_b32_e32 v14, v14, v0, vcc
	v_add_u32_e32 v21, 0x200, v17
	v_add_u32_e32 v22, 0x100, v20
	v_mov_b32_e32 v0, v5
	v_mov_b32_e32 v1, v5
	v_add_u32_e32 v23, v23, v17
	v_add_u32_e32 v24, v16, v20
	s_branch .LBB8_13
.LBB8_11:                               ;   in Loop: Header=BB8_13 Depth=1
	s_or_b64 exec, exec, s[46:47]
.LBB8_12:                               ;   in Loop: Header=BB8_13 Depth=1
	s_or_b64 exec, exec, s[44:45]
	s_add_u32 s36, s36, 1
	s_addc_u32 s37, s37, 0
	v_mov_b64_e32 v[16:17], s[34:35]
	v_cmp_ge_i64_e32 vcc, s[36:37], v[16:17]
	; wave barrier
	s_cbranch_vccnz .LBB8_28
.LBB8_13:                               ; =>This Loop Header: Depth=1
                                        ;     Child Loop BB8_23 Depth 2
                                        ;     Child Loop BB8_26 Depth 2
	s_and_saveexec_b64 s[44:45], s[6:7]
	s_cbranch_execz .LBB8_18
; %bb.14:                               ;   in Loop: Header=BB8_13 Depth=1
	s_lshl_b64 s[46:47], s[36:37], 3
	s_add_u32 s46, s24, s46
	s_addc_u32 s47, s25, s47
	s_load_dwordx2 s[46:47], s[46:47], 0x0
	v_mov_b32_e32 v16, s38
	s_waitcnt lgkmcnt(0)
	s_sub_u32 s29, s46, s17
	s_subb_u32 s33, s47, 0
	s_mul_i32 s48, s29, s39
	s_mul_i32 s33, s33, s38
	s_add_i32 s33, s48, s33
	v_mad_u64_u32 v[16:17], s[48:49], s29, v16, v[6:7]
	v_add_u32_e32 v17, s33, v17
	s_mul_hi_u32 s47, s29, s38
	v_mul_lo_u32 v18, v17, s22
	v_mul_lo_u32 v19, v16, s23
	v_mad_u64_u32 v[16:17], s[48:49], v16, s22, 0
	s_mul_i32 s46, s29, s38
	s_add_i32 s47, s33, s47
	v_add3_u32 v17, v17, v19, v18
	v_lshl_add_u64 v[16:17], v[16:17], 2, s[20:21]
	v_lshl_add_u64 v[18:19], s[46:47], 2, v[8:9]
	s_and_saveexec_b64 s[46:47], s[8:9]
	s_cbranch_execz .LBB8_16
; %bb.15:                               ;   in Loop: Header=BB8_13 Depth=1
	v_lshl_add_u64 v[26:27], v[4:5], 2, v[16:17]
	v_lshl_add_u64 v[28:29], v[10:11], 2, v[18:19]
	v_cndmask_b32_e64 v27, v27, v29, s[12:13]
	v_cndmask_b32_e64 v26, v26, v28, s[12:13]
	global_load_dword v25, v[26:27], off
	s_waitcnt vmcnt(0)
	ds_write_b32 v24, v25
.LBB8_16:                               ;   in Loop: Header=BB8_13 Depth=1
	s_or_b64 exec, exec, s[46:47]
	s_and_b64 exec, exec, s[10:11]
	s_cbranch_execz .LBB8_18
; %bb.17:                               ;   in Loop: Header=BB8_13 Depth=1
	v_lshl_add_u64 v[18:19], v[12:13], 2, v[18:19]
	v_lshl_add_u64 v[16:17], v[2:3], 2, v[16:17]
	v_cndmask_b32_e64 v17, v17, v19, s[12:13]
	v_cndmask_b32_e64 v16, v16, v18, s[12:13]
	global_load_dword v16, v[16:17], off
	s_waitcnt vmcnt(0)
	ds_write_b32 v24, v16 offset:256
.LBB8_18:                               ;   in Loop: Header=BB8_13 Depth=1
	s_or_b64 exec, exec, s[44:45]
	s_and_saveexec_b64 s[44:45], s[40:41]
	s_cbranch_execz .LBB8_20
; %bb.19:                               ;   in Loop: Header=BB8_13 Depth=1
	s_mul_i32 s29, s19, s37
	s_mul_hi_u32 s33, s19, s36
	s_add_i32 s29, s33, s29
	s_mul_i32 s33, s3, s36
	s_add_i32 s47, s29, s33
	s_mul_i32 s46, s19, s36
	v_lshl_add_u64 v[16:17], s[46:47], 2, v[14:15]
	global_load_dword v16, v[16:17], off
	s_waitcnt vmcnt(0)
	ds_write_b32 v23, v16
.LBB8_20:                               ;   in Loop: Header=BB8_13 Depth=1
	s_or_b64 exec, exec, s[44:45]
	s_waitcnt lgkmcnt(0)
	; wave barrier
	s_and_saveexec_b64 s[44:45], s[6:7]
	s_cbranch_execz .LBB8_12
; %bb.21:                               ;   in Loop: Header=BB8_13 Depth=1
	s_and_saveexec_b64 s[46:47], s[26:27]
	s_cbranch_execz .LBB8_24
; %bb.22:                               ;   in Loop: Header=BB8_13 Depth=1
	v_mov_b32_e32 v16, v21
	v_mov_b32_e32 v17, v20
	s_mov_b64 s[48:49], s[38:39]
.LBB8_23:                               ;   Parent Loop BB8_13 Depth=1
                                        ; =>  This Inner Loop Header: Depth=2
	ds_read_b32 v18, v16
	ds_read_b32 v19, v17
	s_add_u32 s48, s48, -1
	s_addc_u32 s49, s49, -1
	v_add_u32_e32 v17, 4, v17
	v_add_u32_e32 v16, 4, v16
	s_cmp_lg_u64 s[48:49], 0
	s_waitcnt lgkmcnt(0)
	v_fma_f32 v0, v18, v19, v0
	s_cbranch_scc1 .LBB8_23
.LBB8_24:                               ;   in Loop: Header=BB8_13 Depth=1
	s_or_b64 exec, exec, s[46:47]
	s_and_saveexec_b64 s[46:47], s[42:43]
	s_cbranch_execz .LBB8_11
; %bb.25:                               ;   in Loop: Header=BB8_13 Depth=1
	v_mov_b32_e32 v16, v21
	v_mov_b32_e32 v17, v22
	s_mov_b64 s[48:49], s[38:39]
.LBB8_26:                               ;   Parent Loop BB8_13 Depth=1
                                        ; =>  This Inner Loop Header: Depth=2
	ds_read_b32 v18, v16
	ds_read_b32 v19, v17
	s_add_u32 s48, s48, -1
	s_addc_u32 s49, s49, -1
	v_add_u32_e32 v17, 4, v17
	v_add_u32_e32 v16, 4, v16
	s_cmp_lg_u64 s[48:49], 0
	s_waitcnt lgkmcnt(0)
	v_fma_f32 v1, v18, v19, v1
	s_cbranch_scc1 .LBB8_26
	s_branch .LBB8_11
.LBB8_27:
	v_mov_b32_e32 v0, v5
	v_mov_b32_e32 v1, v5
.LBB8_28:
	s_and_b64 s[4:5], s[4:5], s[6:7]
	s_and_saveexec_b64 s[6:7], s[4:5]
	s_cbranch_execz .LBB8_48
; %bb.29:
	v_mov_b32_e32 v8, s2
	v_mad_u64_u32 v[6:7], s[4:5], s38, v8, v[6:7]
	s_mul_i32 s4, s39, s2
	s_load_dwordx2 s[2:3], s[0:1], 0x78
	v_add_u32_e32 v7, s4, v7
	s_cmp_lg_u32 s16, 1
	v_cmp_neq_f32_e64 s[0:1], s28, 0
	s_cselect_b64 s[4:5], -1, 0
	s_waitcnt lgkmcnt(0)
	v_mul_lo_u32 v10, s3, v6
	v_mul_lo_u32 v11, s2, v7
	v_mad_u64_u32 v[8:9], s[6:7], s2, v6, 0
	v_add3_u32 v9, v9, v11, v10
	v_lshl_add_u64 v[8:9], v[8:9], 2, s[30:31]
	v_lshl_add_u64 v[6:7], v[6:7], 2, s[30:31]
	v_cmp_gt_i64_e32 vcc, s[14:15], v[4:5]
	s_and_saveexec_b64 s[6:7], vcc
	s_cbranch_execz .LBB8_41
; %bb.30:
	s_mov_b64 s[8:9], -1
	s_and_b64 vcc, exec, s[0:1]
	s_cbranch_vccz .LBB8_36
; %bb.31:
	s_and_b64 vcc, exec, s[4:5]
	s_cbranch_vccz .LBB8_33
; %bb.32:
	v_lshl_add_u64 v[10:11], v[4:5], 2, v[8:9]
	global_load_dword v12, v[10:11], off
	v_mul_f32_e32 v13, s18, v0
	s_mov_b64 s[8:9], 0
	s_waitcnt vmcnt(0)
	v_fmac_f32_e32 v13, s28, v12
	global_store_dword v[10:11], v13, off
.LBB8_33:
	s_andn2_b64 vcc, exec, s[8:9]
	s_cbranch_vccnz .LBB8_35
; %bb.34:
	v_mad_u64_u32 v[10:11], s[8:9], s2, v4, 0
	v_mov_b32_e32 v12, v11
	v_mad_u64_u32 v[12:13], s[8:9], s3, v4, v[12:13]
	v_mov_b32_e32 v11, v12
	v_lshl_add_u64 v[10:11], v[10:11], 2, v[6:7]
	global_load_dword v12, v[10:11], off
	v_mul_f32_e32 v13, s18, v0
	s_waitcnt vmcnt(0)
	v_fmac_f32_e32 v13, s28, v12
	global_store_dword v[10:11], v13, off
.LBB8_35:
	s_mov_b64 s[8:9], 0
.LBB8_36:
	s_andn2_b64 vcc, exec, s[8:9]
	s_cbranch_vccnz .LBB8_41
; %bb.37:
	v_mul_f32_e32 v0, s18, v0
	s_mov_b64 s[8:9], -1
	s_and_b64 vcc, exec, s[4:5]
	s_cbranch_vccz .LBB8_39
; %bb.38:
	v_lshl_add_u64 v[10:11], v[4:5], 2, v[8:9]
	global_store_dword v[10:11], v0, off
	s_mov_b64 s[8:9], 0
.LBB8_39:
	s_andn2_b64 vcc, exec, s[8:9]
	s_cbranch_vccnz .LBB8_41
; %bb.40:
	v_mad_u64_u32 v[10:11], s[8:9], s2, v4, 0
	v_mov_b32_e32 v12, v11
	v_mad_u64_u32 v[4:5], s[8:9], s3, v4, v[12:13]
	v_mov_b32_e32 v11, v4
	v_lshl_add_u64 v[4:5], v[10:11], 2, v[6:7]
	global_store_dword v[4:5], v0, off
.LBB8_41:
	s_or_b64 exec, exec, s[6:7]
	v_cmp_gt_i64_e32 vcc, s[14:15], v[2:3]
	s_and_b64 exec, exec, vcc
	s_cbranch_execz .LBB8_48
; %bb.42:
	v_cndmask_b32_e64 v0, 0, 1, s[4:5]
	s_andn2_b64 vcc, exec, s[0:1]
	v_cmp_ne_u32_e64 s[0:1], 1, v0
	s_cbranch_vccnz .LBB8_49
; %bb.43:
	s_and_b64 vcc, exec, s[0:1]
	s_mov_b64 s[4:5], -1
	s_cbranch_vccnz .LBB8_45
; %bb.44:
	v_lshl_add_u64 v[4:5], v[2:3], 2, v[8:9]
	global_load_dword v0, v[4:5], off
	v_mul_f32_e32 v10, s18, v1
	s_mov_b64 s[4:5], 0
	s_waitcnt vmcnt(0)
	v_fmac_f32_e32 v10, s28, v0
	global_store_dword v[4:5], v10, off
.LBB8_45:
	s_andn2_b64 vcc, exec, s[4:5]
	s_cbranch_vccnz .LBB8_47
; %bb.46:
	v_mad_u64_u32 v[4:5], s[4:5], s2, v2, 0
	v_mov_b32_e32 v0, v5
	v_mad_u64_u32 v[10:11], s[4:5], s3, v2, v[0:1]
	v_mov_b32_e32 v5, v10
	v_lshl_add_u64 v[4:5], v[4:5], 2, v[6:7]
	global_load_dword v0, v[4:5], off
	v_mul_f32_e32 v10, s18, v1
	s_waitcnt vmcnt(0)
	v_fmac_f32_e32 v10, s28, v0
	global_store_dword v[4:5], v10, off
.LBB8_47:
	s_cbranch_execz .LBB8_50
.LBB8_48:
	s_endpgm
.LBB8_49:
.LBB8_50:
	v_mul_f32_e32 v0, s18, v1
	s_and_b64 vcc, exec, s[0:1]
	s_mov_b64 s[0:1], -1
	s_cbranch_vccnz .LBB8_52
; %bb.51:
	v_lshl_add_u64 v[4:5], v[2:3], 2, v[8:9]
	s_mov_b64 s[0:1], 0
	global_store_dword v[4:5], v0, off
.LBB8_52:
	s_andn2_b64 vcc, exec, s[0:1]
	s_cbranch_vccnz .LBB8_48
; %bb.53:
	v_mad_u64_u32 v[4:5], s[0:1], s2, v2, 0
	v_mov_b32_e32 v8, v5
	v_mad_u64_u32 v[2:3], s[0:1], s3, v2, v[8:9]
	v_mov_b32_e32 v5, v2
	v_lshl_add_u64 v[2:3], v[4:5], 2, v[6:7]
	global_store_dword v[2:3], v0, off
	s_endpgm
	.section	.rodata,"a",@progbits
	.p2align	6, 0x0
	.amdhsa_kernel _ZN9rocsparseL31bsrmm_large_blockdim_kernel_extILj8ELj8ELj2EllffffEEvb20rocsparse_direction_T3_S2_llNS_24const_host_device_scalarIT7_EEPKT2_PKS2_PKT4_S2_PKT5_llS5_PT6_ll16rocsparse_order_21rocsparse_index_base_b
		.amdhsa_group_segment_fixed_size 768
		.amdhsa_private_segment_fixed_size 0
		.amdhsa_kernarg_size 148
		.amdhsa_user_sgpr_count 2
		.amdhsa_user_sgpr_dispatch_ptr 0
		.amdhsa_user_sgpr_queue_ptr 0
		.amdhsa_user_sgpr_kernarg_segment_ptr 1
		.amdhsa_user_sgpr_dispatch_id 0
		.amdhsa_user_sgpr_kernarg_preload_length 0
		.amdhsa_user_sgpr_kernarg_preload_offset 0
		.amdhsa_user_sgpr_private_segment_size 0
		.amdhsa_uses_dynamic_stack 0
		.amdhsa_enable_private_segment 0
		.amdhsa_system_sgpr_workgroup_id_x 1
		.amdhsa_system_sgpr_workgroup_id_y 1
		.amdhsa_system_sgpr_workgroup_id_z 0
		.amdhsa_system_sgpr_workgroup_info 0
		.amdhsa_system_vgpr_workitem_id 1
		.amdhsa_next_free_vgpr 30
		.amdhsa_next_free_sgpr 50
		.amdhsa_accum_offset 32
		.amdhsa_reserve_vcc 1
		.amdhsa_float_round_mode_32 0
		.amdhsa_float_round_mode_16_64 0
		.amdhsa_float_denorm_mode_32 3
		.amdhsa_float_denorm_mode_16_64 3
		.amdhsa_dx10_clamp 1
		.amdhsa_ieee_mode 1
		.amdhsa_fp16_overflow 0
		.amdhsa_tg_split 0
		.amdhsa_exception_fp_ieee_invalid_op 0
		.amdhsa_exception_fp_denorm_src 0
		.amdhsa_exception_fp_ieee_div_zero 0
		.amdhsa_exception_fp_ieee_overflow 0
		.amdhsa_exception_fp_ieee_underflow 0
		.amdhsa_exception_fp_ieee_inexact 0
		.amdhsa_exception_int_div_zero 0
	.end_amdhsa_kernel
	.section	.text._ZN9rocsparseL31bsrmm_large_blockdim_kernel_extILj8ELj8ELj2EllffffEEvb20rocsparse_direction_T3_S2_llNS_24const_host_device_scalarIT7_EEPKT2_PKS2_PKT4_S2_PKT5_llS5_PT6_ll16rocsparse_order_21rocsparse_index_base_b,"axG",@progbits,_ZN9rocsparseL31bsrmm_large_blockdim_kernel_extILj8ELj8ELj2EllffffEEvb20rocsparse_direction_T3_S2_llNS_24const_host_device_scalarIT7_EEPKT2_PKS2_PKT4_S2_PKT5_llS5_PT6_ll16rocsparse_order_21rocsparse_index_base_b,comdat
.Lfunc_end8:
	.size	_ZN9rocsparseL31bsrmm_large_blockdim_kernel_extILj8ELj8ELj2EllffffEEvb20rocsparse_direction_T3_S2_llNS_24const_host_device_scalarIT7_EEPKT2_PKS2_PKT4_S2_PKT5_llS5_PT6_ll16rocsparse_order_21rocsparse_index_base_b, .Lfunc_end8-_ZN9rocsparseL31bsrmm_large_blockdim_kernel_extILj8ELj8ELj2EllffffEEvb20rocsparse_direction_T3_S2_llNS_24const_host_device_scalarIT7_EEPKT2_PKS2_PKT4_S2_PKT5_llS5_PT6_ll16rocsparse_order_21rocsparse_index_base_b
                                        ; -- End function
	.set _ZN9rocsparseL31bsrmm_large_blockdim_kernel_extILj8ELj8ELj2EllffffEEvb20rocsparse_direction_T3_S2_llNS_24const_host_device_scalarIT7_EEPKT2_PKS2_PKT4_S2_PKT5_llS5_PT6_ll16rocsparse_order_21rocsparse_index_base_b.num_vgpr, 30
	.set _ZN9rocsparseL31bsrmm_large_blockdim_kernel_extILj8ELj8ELj2EllffffEEvb20rocsparse_direction_T3_S2_llNS_24const_host_device_scalarIT7_EEPKT2_PKS2_PKT4_S2_PKT5_llS5_PT6_ll16rocsparse_order_21rocsparse_index_base_b.num_agpr, 0
	.set _ZN9rocsparseL31bsrmm_large_blockdim_kernel_extILj8ELj8ELj2EllffffEEvb20rocsparse_direction_T3_S2_llNS_24const_host_device_scalarIT7_EEPKT2_PKS2_PKT4_S2_PKT5_llS5_PT6_ll16rocsparse_order_21rocsparse_index_base_b.numbered_sgpr, 50
	.set _ZN9rocsparseL31bsrmm_large_blockdim_kernel_extILj8ELj8ELj2EllffffEEvb20rocsparse_direction_T3_S2_llNS_24const_host_device_scalarIT7_EEPKT2_PKS2_PKT4_S2_PKT5_llS5_PT6_ll16rocsparse_order_21rocsparse_index_base_b.num_named_barrier, 0
	.set _ZN9rocsparseL31bsrmm_large_blockdim_kernel_extILj8ELj8ELj2EllffffEEvb20rocsparse_direction_T3_S2_llNS_24const_host_device_scalarIT7_EEPKT2_PKS2_PKT4_S2_PKT5_llS5_PT6_ll16rocsparse_order_21rocsparse_index_base_b.private_seg_size, 0
	.set _ZN9rocsparseL31bsrmm_large_blockdim_kernel_extILj8ELj8ELj2EllffffEEvb20rocsparse_direction_T3_S2_llNS_24const_host_device_scalarIT7_EEPKT2_PKS2_PKT4_S2_PKT5_llS5_PT6_ll16rocsparse_order_21rocsparse_index_base_b.uses_vcc, 1
	.set _ZN9rocsparseL31bsrmm_large_blockdim_kernel_extILj8ELj8ELj2EllffffEEvb20rocsparse_direction_T3_S2_llNS_24const_host_device_scalarIT7_EEPKT2_PKS2_PKT4_S2_PKT5_llS5_PT6_ll16rocsparse_order_21rocsparse_index_base_b.uses_flat_scratch, 0
	.set _ZN9rocsparseL31bsrmm_large_blockdim_kernel_extILj8ELj8ELj2EllffffEEvb20rocsparse_direction_T3_S2_llNS_24const_host_device_scalarIT7_EEPKT2_PKS2_PKT4_S2_PKT5_llS5_PT6_ll16rocsparse_order_21rocsparse_index_base_b.has_dyn_sized_stack, 0
	.set _ZN9rocsparseL31bsrmm_large_blockdim_kernel_extILj8ELj8ELj2EllffffEEvb20rocsparse_direction_T3_S2_llNS_24const_host_device_scalarIT7_EEPKT2_PKS2_PKT4_S2_PKT5_llS5_PT6_ll16rocsparse_order_21rocsparse_index_base_b.has_recursion, 0
	.set _ZN9rocsparseL31bsrmm_large_blockdim_kernel_extILj8ELj8ELj2EllffffEEvb20rocsparse_direction_T3_S2_llNS_24const_host_device_scalarIT7_EEPKT2_PKS2_PKT4_S2_PKT5_llS5_PT6_ll16rocsparse_order_21rocsparse_index_base_b.has_indirect_call, 0
	.section	.AMDGPU.csdata,"",@progbits
; Kernel info:
; codeLenInByte = 1764
; TotalNumSgprs: 56
; NumVgprs: 30
; NumAgprs: 0
; TotalNumVgprs: 30
; ScratchSize: 0
; MemoryBound: 0
; FloatMode: 240
; IeeeMode: 1
; LDSByteSize: 768 bytes/workgroup (compile time only)
; SGPRBlocks: 6
; VGPRBlocks: 3
; NumSGPRsForWavesPerEU: 56
; NumVGPRsForWavesPerEU: 30
; AccumOffset: 32
; Occupancy: 8
; WaveLimiterHint : 1
; COMPUTE_PGM_RSRC2:SCRATCH_EN: 0
; COMPUTE_PGM_RSRC2:USER_SGPR: 2
; COMPUTE_PGM_RSRC2:TRAP_HANDLER: 0
; COMPUTE_PGM_RSRC2:TGID_X_EN: 1
; COMPUTE_PGM_RSRC2:TGID_Y_EN: 1
; COMPUTE_PGM_RSRC2:TGID_Z_EN: 0
; COMPUTE_PGM_RSRC2:TIDIG_COMP_CNT: 1
; COMPUTE_PGM_RSRC3_GFX90A:ACCUM_OFFSET: 7
; COMPUTE_PGM_RSRC3_GFX90A:TG_SPLIT: 0
	.section	.text._ZN9rocsparseL31bsrmm_large_blockdim_kernel_extILj4ELj16ELj2EllffffEEvb20rocsparse_direction_T3_S2_llNS_24const_host_device_scalarIT7_EEPKT2_PKS2_PKT4_S2_PKT5_llS5_PT6_ll16rocsparse_order_21rocsparse_index_base_b,"axG",@progbits,_ZN9rocsparseL31bsrmm_large_blockdim_kernel_extILj4ELj16ELj2EllffffEEvb20rocsparse_direction_T3_S2_llNS_24const_host_device_scalarIT7_EEPKT2_PKS2_PKT4_S2_PKT5_llS5_PT6_ll16rocsparse_order_21rocsparse_index_base_b,comdat
	.globl	_ZN9rocsparseL31bsrmm_large_blockdim_kernel_extILj4ELj16ELj2EllffffEEvb20rocsparse_direction_T3_S2_llNS_24const_host_device_scalarIT7_EEPKT2_PKS2_PKT4_S2_PKT5_llS5_PT6_ll16rocsparse_order_21rocsparse_index_base_b ; -- Begin function _ZN9rocsparseL31bsrmm_large_blockdim_kernel_extILj4ELj16ELj2EllffffEEvb20rocsparse_direction_T3_S2_llNS_24const_host_device_scalarIT7_EEPKT2_PKS2_PKT4_S2_PKT5_llS5_PT6_ll16rocsparse_order_21rocsparse_index_base_b
	.p2align	8
	.type	_ZN9rocsparseL31bsrmm_large_blockdim_kernel_extILj4ELj16ELj2EllffffEEvb20rocsparse_direction_T3_S2_llNS_24const_host_device_scalarIT7_EEPKT2_PKS2_PKT4_S2_PKT5_llS5_PT6_ll16rocsparse_order_21rocsparse_index_base_b,@function
_ZN9rocsparseL31bsrmm_large_blockdim_kernel_extILj4ELj16ELj2EllffffEEvb20rocsparse_direction_T3_S2_llNS_24const_host_device_scalarIT7_EEPKT2_PKS2_PKT4_S2_PKT5_llS5_PT6_ll16rocsparse_order_21rocsparse_index_base_b: ; @_ZN9rocsparseL31bsrmm_large_blockdim_kernel_extILj4ELj16ELj2EllffffEEvb20rocsparse_direction_T3_S2_llNS_24const_host_device_scalarIT7_EEPKT2_PKS2_PKT4_S2_PKT5_llS5_PT6_ll16rocsparse_order_21rocsparse_index_base_b
; %bb.0:
	s_load_dwordx4 s[16:19], s[0:1], 0x88
	s_mov_b32 s6, s3
	s_waitcnt lgkmcnt(0)
	s_bitcmp1_b32 s18, 0
	s_load_dwordx2 s[18:19], s[0:1], 0x28
	s_load_dwordx2 s[28:29], s[0:1], 0x68
	s_cselect_b64 s[8:9], -1, 0
	s_xor_b64 s[4:5], s[8:9], -1
	s_and_b64 vcc, exec, s[8:9]
	s_cbranch_vccnz .LBB9_2
; %bb.1:
	s_waitcnt lgkmcnt(0)
	s_load_dword s18, s[18:19], 0x0
.LBB9_2:
	s_andn2_b64 vcc, exec, s[4:5]
	s_cbranch_vccnz .LBB9_4
; %bb.3:
	s_waitcnt lgkmcnt(0)
	s_load_dword s28, s[28:29], 0x0
.LBB9_4:
	s_waitcnt lgkmcnt(0)
	v_cmp_eq_f32_e64 s[4:5], s18, 0
	v_cmp_eq_f32_e64 s[8:9], s28, 1.0
	s_and_b64 s[4:5], s[4:5], s[8:9]
	s_and_b64 vcc, exec, s[4:5]
	s_cbranch_vccnz .LBB9_48
; %bb.5:
	s_load_dwordx4 s[12:15], s[0:1], 0x8
	s_load_dwordx2 s[8:9], s[0:1], 0x30
	s_ashr_i32 s3, s2, 31
	v_mov_b64_e32 v[2:3], s[2:3]
	s_mov_b64 s[34:35], 0
	s_waitcnt lgkmcnt(0)
	v_cmp_le_i64_e32 vcc, s[12:13], v[2:3]
	v_cmp_gt_i64_e64 s[4:5], s[12:13], v[2:3]
	s_mov_b64 s[36:37], 0
	s_cbranch_vccnz .LBB9_7
; %bb.6:
	s_lshl_b64 s[10:11], s[2:3], 3
	s_add_u32 s10, s8, s10
	s_addc_u32 s11, s9, s11
	s_load_dwordx2 s[10:11], s[10:11], 0x0
	s_waitcnt lgkmcnt(0)
	s_sub_u32 s36, s10, s17
	s_subb_u32 s37, s11, 0
.LBB9_7:
	s_andn2_b64 vcc, exec, s[4:5]
	s_cbranch_vccnz .LBB9_9
; %bb.8:
	s_lshl_b64 s[10:11], s[2:3], 3
	s_add_u32 s8, s8, s10
	s_addc_u32 s9, s9, s11
	s_load_dwordx2 s[8:9], s[8:9], 0x8
	s_waitcnt lgkmcnt(0)
	s_sub_u32 s34, s8, s17
	s_subb_u32 s35, s9, 0
.LBB9_9:
	s_load_dwordx2 s[30:31], s[0:1], 0x70
	s_load_dwordx2 s[38:39], s[0:1], 0x48
	v_bfe_u32 v10, v0, 10, 10
	v_lshl_add_u32 v4, s6, 5, v10
	v_mov_b32_e32 v5, 0
	v_and_b32_e32 v6, 0x3ff, v0
	v_mov_b64_e32 v[0:1], s[34:35]
	v_add_u32_e32 v2, 16, v4
	v_mov_b32_e32 v3, v5
	v_mov_b32_e32 v7, v5
	v_cmp_ge_i64_e32 vcc, s[36:37], v[0:1]
	s_waitcnt lgkmcnt(0)
	v_cmp_gt_i64_e64 s[6:7], s[38:39], v[6:7]
	v_cmp_gt_i64_e64 s[8:9], s[14:15], v[4:5]
	;; [unrolled: 1-line block ×3, first 2 shown]
	s_cbranch_vccnz .LBB9_27
; %bb.10:
	s_load_dwordx4 s[24:27], s[0:1], 0x38
	s_load_dwordx2 s[42:43], s[0:1], 0x0
	s_mul_i32 s3, s38, s39
	s_mul_hi_u32 s12, s38, s38
	v_mov_b32_e32 v11, v5
	s_add_i32 s12, s12, s3
	v_cmp_gt_i64_e32 vcc, s[38:39], v[10:11]
	s_add_i32 s3, s12, s3
	s_and_b64 s[40:41], s[6:7], vcc
	s_waitcnt lgkmcnt(0)
	s_bitcmp1_b32 s42, 0
	s_cselect_b64 s[12:13], -1, 0
	s_cmp_eq_u32 s43, 0
	v_mad_u64_u32 v[12:13], s[42:43], s38, v10, 0
	v_mov_b32_e32 v14, v13
	v_lshlrev_b32_e32 v0, 2, v10
	v_lshlrev_b32_e32 v20, 4, v10
	v_mad_u64_u32 v[10:11], s[42:43], s39, v10, v[14:15]
	v_mov_b32_e32 v13, v10
	v_lshlrev_b32_e32 v16, 2, v6
	v_mov_b32_e32 v17, v5
	v_lshl_add_u64 v[10:11], v[12:13], 2, s[26:27]
	s_load_dwordx4 s[20:23], s[0:1], 0x50
	v_lshl_add_u64 v[14:15], v[10:11], 0, v[16:17]
	v_mad_u64_u32 v[10:11], s[42:43], s38, v6, 0
	v_mov_b32_e32 v12, v11
	v_mad_u64_u32 v[12:13], s[42:43], s39, v6, v[12:13]
	v_mov_b32_e32 v11, v12
	v_lshl_add_u64 v[10:11], v[10:11], 2, s[26:27]
	v_mov_b32_e32 v1, v5
	v_add_u32_e32 v23, 0x200, v0
	v_lshl_add_u64 v[0:1], v[10:11], 0, v[0:1]
	s_waitcnt lgkmcnt(0)
	v_mad_u64_u32 v[10:11], s[26:27], s22, v4, 0
	v_mov_b32_e32 v12, v11
	v_mad_u64_u32 v[12:13], s[26:27], s23, v4, v[12:13]
	v_mov_b32_e32 v11, v12
	;; [unrolled: 2-line block ×3, first 2 shown]
	v_lshl_add_u64 v[8:9], s[20:21], 0, v[16:17]
	s_cselect_b64 vcc, -1, 0
	v_lshlrev_b32_e32 v17, 4, v6
	v_cmp_gt_i64_e64 s[42:43], s[38:39], 0
	v_mad_u64_u32 v[18:19], s[26:27], s23, v2, v[18:19]
	s_mul_i32 s19, s38, s38
	v_mov_b32_e32 v13, v18
	s_and_b64 s[26:27], s[8:9], s[42:43]
	s_and_b64 s[42:43], s[10:11], s[42:43]
	v_cndmask_b32_e32 v15, v15, v1, vcc
	v_cndmask_b32_e32 v14, v14, v0, vcc
	v_add_u32_e32 v21, 0x200, v17
	v_add_u32_e32 v22, 0x100, v20
	v_mov_b32_e32 v0, v5
	v_mov_b32_e32 v1, v5
	v_add_u32_e32 v23, v23, v17
	v_add_u32_e32 v24, v16, v20
	s_branch .LBB9_13
.LBB9_11:                               ;   in Loop: Header=BB9_13 Depth=1
	s_or_b64 exec, exec, s[46:47]
.LBB9_12:                               ;   in Loop: Header=BB9_13 Depth=1
	s_or_b64 exec, exec, s[44:45]
	s_add_u32 s36, s36, 1
	s_addc_u32 s37, s37, 0
	v_mov_b64_e32 v[16:17], s[34:35]
	v_cmp_ge_i64_e32 vcc, s[36:37], v[16:17]
	; wave barrier
	s_cbranch_vccnz .LBB9_28
.LBB9_13:                               ; =>This Loop Header: Depth=1
                                        ;     Child Loop BB9_23 Depth 2
                                        ;     Child Loop BB9_26 Depth 2
	s_and_saveexec_b64 s[44:45], s[6:7]
	s_cbranch_execz .LBB9_18
; %bb.14:                               ;   in Loop: Header=BB9_13 Depth=1
	s_lshl_b64 s[46:47], s[36:37], 3
	s_add_u32 s46, s24, s46
	s_addc_u32 s47, s25, s47
	s_load_dwordx2 s[46:47], s[46:47], 0x0
	v_mov_b32_e32 v16, s38
	s_waitcnt lgkmcnt(0)
	s_sub_u32 s29, s46, s17
	s_subb_u32 s33, s47, 0
	s_mul_i32 s48, s29, s39
	s_mul_i32 s33, s33, s38
	s_add_i32 s33, s48, s33
	v_mad_u64_u32 v[16:17], s[48:49], s29, v16, v[6:7]
	v_add_u32_e32 v17, s33, v17
	s_mul_hi_u32 s47, s29, s38
	v_mul_lo_u32 v18, v17, s22
	v_mul_lo_u32 v19, v16, s23
	v_mad_u64_u32 v[16:17], s[48:49], v16, s22, 0
	s_mul_i32 s46, s29, s38
	s_add_i32 s47, s33, s47
	v_add3_u32 v17, v17, v19, v18
	v_lshl_add_u64 v[16:17], v[16:17], 2, s[20:21]
	v_lshl_add_u64 v[18:19], s[46:47], 2, v[8:9]
	s_and_saveexec_b64 s[46:47], s[8:9]
	s_cbranch_execz .LBB9_16
; %bb.15:                               ;   in Loop: Header=BB9_13 Depth=1
	v_lshl_add_u64 v[26:27], v[4:5], 2, v[16:17]
	v_lshl_add_u64 v[28:29], v[10:11], 2, v[18:19]
	v_cndmask_b32_e64 v27, v27, v29, s[12:13]
	v_cndmask_b32_e64 v26, v26, v28, s[12:13]
	global_load_dword v25, v[26:27], off
	s_waitcnt vmcnt(0)
	ds_write_b32 v24, v25
.LBB9_16:                               ;   in Loop: Header=BB9_13 Depth=1
	s_or_b64 exec, exec, s[46:47]
	s_and_b64 exec, exec, s[10:11]
	s_cbranch_execz .LBB9_18
; %bb.17:                               ;   in Loop: Header=BB9_13 Depth=1
	v_lshl_add_u64 v[18:19], v[12:13], 2, v[18:19]
	v_lshl_add_u64 v[16:17], v[2:3], 2, v[16:17]
	v_cndmask_b32_e64 v17, v17, v19, s[12:13]
	v_cndmask_b32_e64 v16, v16, v18, s[12:13]
	global_load_dword v16, v[16:17], off
	s_waitcnt vmcnt(0)
	ds_write_b32 v24, v16 offset:256
.LBB9_18:                               ;   in Loop: Header=BB9_13 Depth=1
	s_or_b64 exec, exec, s[44:45]
	s_and_saveexec_b64 s[44:45], s[40:41]
	s_cbranch_execz .LBB9_20
; %bb.19:                               ;   in Loop: Header=BB9_13 Depth=1
	s_mul_i32 s29, s19, s37
	s_mul_hi_u32 s33, s19, s36
	s_add_i32 s29, s33, s29
	s_mul_i32 s33, s3, s36
	s_add_i32 s47, s29, s33
	s_mul_i32 s46, s19, s36
	v_lshl_add_u64 v[16:17], s[46:47], 2, v[14:15]
	global_load_dword v16, v[16:17], off
	s_waitcnt vmcnt(0)
	ds_write_b32 v23, v16
.LBB9_20:                               ;   in Loop: Header=BB9_13 Depth=1
	s_or_b64 exec, exec, s[44:45]
	s_waitcnt lgkmcnt(0)
	; wave barrier
	s_and_saveexec_b64 s[44:45], s[6:7]
	s_cbranch_execz .LBB9_12
; %bb.21:                               ;   in Loop: Header=BB9_13 Depth=1
	s_and_saveexec_b64 s[46:47], s[26:27]
	s_cbranch_execz .LBB9_24
; %bb.22:                               ;   in Loop: Header=BB9_13 Depth=1
	v_mov_b32_e32 v16, v21
	v_mov_b32_e32 v17, v20
	s_mov_b64 s[48:49], s[38:39]
.LBB9_23:                               ;   Parent Loop BB9_13 Depth=1
                                        ; =>  This Inner Loop Header: Depth=2
	ds_read_b32 v18, v16
	ds_read_b32 v19, v17
	s_add_u32 s48, s48, -1
	s_addc_u32 s49, s49, -1
	v_add_u32_e32 v17, 4, v17
	v_add_u32_e32 v16, 4, v16
	s_cmp_lg_u64 s[48:49], 0
	s_waitcnt lgkmcnt(0)
	v_fma_f32 v0, v18, v19, v0
	s_cbranch_scc1 .LBB9_23
.LBB9_24:                               ;   in Loop: Header=BB9_13 Depth=1
	s_or_b64 exec, exec, s[46:47]
	s_and_saveexec_b64 s[46:47], s[42:43]
	s_cbranch_execz .LBB9_11
; %bb.25:                               ;   in Loop: Header=BB9_13 Depth=1
	v_mov_b32_e32 v16, v21
	v_mov_b32_e32 v17, v22
	s_mov_b64 s[48:49], s[38:39]
.LBB9_26:                               ;   Parent Loop BB9_13 Depth=1
                                        ; =>  This Inner Loop Header: Depth=2
	ds_read_b32 v18, v16
	ds_read_b32 v19, v17
	s_add_u32 s48, s48, -1
	s_addc_u32 s49, s49, -1
	v_add_u32_e32 v17, 4, v17
	v_add_u32_e32 v16, 4, v16
	s_cmp_lg_u64 s[48:49], 0
	s_waitcnt lgkmcnt(0)
	v_fma_f32 v1, v18, v19, v1
	s_cbranch_scc1 .LBB9_26
	s_branch .LBB9_11
.LBB9_27:
	v_mov_b32_e32 v0, v5
	v_mov_b32_e32 v1, v5
.LBB9_28:
	s_and_b64 s[4:5], s[4:5], s[6:7]
	s_and_saveexec_b64 s[6:7], s[4:5]
	s_cbranch_execz .LBB9_48
; %bb.29:
	v_mov_b32_e32 v8, s2
	v_mad_u64_u32 v[6:7], s[4:5], s38, v8, v[6:7]
	s_mul_i32 s4, s39, s2
	s_load_dwordx2 s[2:3], s[0:1], 0x78
	v_add_u32_e32 v7, s4, v7
	s_cmp_lg_u32 s16, 1
	v_cmp_neq_f32_e64 s[0:1], s28, 0
	s_cselect_b64 s[4:5], -1, 0
	s_waitcnt lgkmcnt(0)
	v_mul_lo_u32 v10, s3, v6
	v_mul_lo_u32 v11, s2, v7
	v_mad_u64_u32 v[8:9], s[6:7], s2, v6, 0
	v_add3_u32 v9, v9, v11, v10
	v_lshl_add_u64 v[8:9], v[8:9], 2, s[30:31]
	v_lshl_add_u64 v[6:7], v[6:7], 2, s[30:31]
	v_cmp_gt_i64_e32 vcc, s[14:15], v[4:5]
	s_and_saveexec_b64 s[6:7], vcc
	s_cbranch_execz .LBB9_41
; %bb.30:
	s_mov_b64 s[8:9], -1
	s_and_b64 vcc, exec, s[0:1]
	s_cbranch_vccz .LBB9_36
; %bb.31:
	s_and_b64 vcc, exec, s[4:5]
	s_cbranch_vccz .LBB9_33
; %bb.32:
	v_lshl_add_u64 v[10:11], v[4:5], 2, v[8:9]
	global_load_dword v12, v[10:11], off
	v_mul_f32_e32 v13, s18, v0
	s_mov_b64 s[8:9], 0
	s_waitcnt vmcnt(0)
	v_fmac_f32_e32 v13, s28, v12
	global_store_dword v[10:11], v13, off
.LBB9_33:
	s_andn2_b64 vcc, exec, s[8:9]
	s_cbranch_vccnz .LBB9_35
; %bb.34:
	v_mad_u64_u32 v[10:11], s[8:9], s2, v4, 0
	v_mov_b32_e32 v12, v11
	v_mad_u64_u32 v[12:13], s[8:9], s3, v4, v[12:13]
	v_mov_b32_e32 v11, v12
	v_lshl_add_u64 v[10:11], v[10:11], 2, v[6:7]
	global_load_dword v12, v[10:11], off
	v_mul_f32_e32 v13, s18, v0
	s_waitcnt vmcnt(0)
	v_fmac_f32_e32 v13, s28, v12
	global_store_dword v[10:11], v13, off
.LBB9_35:
	s_mov_b64 s[8:9], 0
.LBB9_36:
	s_andn2_b64 vcc, exec, s[8:9]
	s_cbranch_vccnz .LBB9_41
; %bb.37:
	v_mul_f32_e32 v0, s18, v0
	s_mov_b64 s[8:9], -1
	s_and_b64 vcc, exec, s[4:5]
	s_cbranch_vccz .LBB9_39
; %bb.38:
	v_lshl_add_u64 v[10:11], v[4:5], 2, v[8:9]
	global_store_dword v[10:11], v0, off
	s_mov_b64 s[8:9], 0
.LBB9_39:
	s_andn2_b64 vcc, exec, s[8:9]
	s_cbranch_vccnz .LBB9_41
; %bb.40:
	v_mad_u64_u32 v[10:11], s[8:9], s2, v4, 0
	v_mov_b32_e32 v12, v11
	v_mad_u64_u32 v[4:5], s[8:9], s3, v4, v[12:13]
	v_mov_b32_e32 v11, v4
	v_lshl_add_u64 v[4:5], v[10:11], 2, v[6:7]
	global_store_dword v[4:5], v0, off
.LBB9_41:
	s_or_b64 exec, exec, s[6:7]
	v_cmp_gt_i64_e32 vcc, s[14:15], v[2:3]
	s_and_b64 exec, exec, vcc
	s_cbranch_execz .LBB9_48
; %bb.42:
	v_cndmask_b32_e64 v0, 0, 1, s[4:5]
	s_andn2_b64 vcc, exec, s[0:1]
	v_cmp_ne_u32_e64 s[0:1], 1, v0
	s_cbranch_vccnz .LBB9_49
; %bb.43:
	s_and_b64 vcc, exec, s[0:1]
	s_mov_b64 s[4:5], -1
	s_cbranch_vccnz .LBB9_45
; %bb.44:
	v_lshl_add_u64 v[4:5], v[2:3], 2, v[8:9]
	global_load_dword v0, v[4:5], off
	v_mul_f32_e32 v10, s18, v1
	s_mov_b64 s[4:5], 0
	s_waitcnt vmcnt(0)
	v_fmac_f32_e32 v10, s28, v0
	global_store_dword v[4:5], v10, off
.LBB9_45:
	s_andn2_b64 vcc, exec, s[4:5]
	s_cbranch_vccnz .LBB9_47
; %bb.46:
	v_mad_u64_u32 v[4:5], s[4:5], s2, v2, 0
	v_mov_b32_e32 v0, v5
	v_mad_u64_u32 v[10:11], s[4:5], s3, v2, v[0:1]
	v_mov_b32_e32 v5, v10
	v_lshl_add_u64 v[4:5], v[4:5], 2, v[6:7]
	global_load_dword v0, v[4:5], off
	v_mul_f32_e32 v10, s18, v1
	s_waitcnt vmcnt(0)
	v_fmac_f32_e32 v10, s28, v0
	global_store_dword v[4:5], v10, off
.LBB9_47:
	s_cbranch_execz .LBB9_50
.LBB9_48:
	s_endpgm
.LBB9_49:
.LBB9_50:
	v_mul_f32_e32 v0, s18, v1
	s_and_b64 vcc, exec, s[0:1]
	s_mov_b64 s[0:1], -1
	s_cbranch_vccnz .LBB9_52
; %bb.51:
	v_lshl_add_u64 v[4:5], v[2:3], 2, v[8:9]
	s_mov_b64 s[0:1], 0
	global_store_dword v[4:5], v0, off
.LBB9_52:
	s_andn2_b64 vcc, exec, s[0:1]
	s_cbranch_vccnz .LBB9_48
; %bb.53:
	v_mad_u64_u32 v[4:5], s[0:1], s2, v2, 0
	v_mov_b32_e32 v8, v5
	v_mad_u64_u32 v[2:3], s[0:1], s3, v2, v[8:9]
	v_mov_b32_e32 v5, v2
	v_lshl_add_u64 v[2:3], v[4:5], 2, v[6:7]
	global_store_dword v[2:3], v0, off
	s_endpgm
	.section	.rodata,"a",@progbits
	.p2align	6, 0x0
	.amdhsa_kernel _ZN9rocsparseL31bsrmm_large_blockdim_kernel_extILj4ELj16ELj2EllffffEEvb20rocsparse_direction_T3_S2_llNS_24const_host_device_scalarIT7_EEPKT2_PKS2_PKT4_S2_PKT5_llS5_PT6_ll16rocsparse_order_21rocsparse_index_base_b
		.amdhsa_group_segment_fixed_size 576
		.amdhsa_private_segment_fixed_size 0
		.amdhsa_kernarg_size 148
		.amdhsa_user_sgpr_count 2
		.amdhsa_user_sgpr_dispatch_ptr 0
		.amdhsa_user_sgpr_queue_ptr 0
		.amdhsa_user_sgpr_kernarg_segment_ptr 1
		.amdhsa_user_sgpr_dispatch_id 0
		.amdhsa_user_sgpr_kernarg_preload_length 0
		.amdhsa_user_sgpr_kernarg_preload_offset 0
		.amdhsa_user_sgpr_private_segment_size 0
		.amdhsa_uses_dynamic_stack 0
		.amdhsa_enable_private_segment 0
		.amdhsa_system_sgpr_workgroup_id_x 1
		.amdhsa_system_sgpr_workgroup_id_y 1
		.amdhsa_system_sgpr_workgroup_id_z 0
		.amdhsa_system_sgpr_workgroup_info 0
		.amdhsa_system_vgpr_workitem_id 1
		.amdhsa_next_free_vgpr 30
		.amdhsa_next_free_sgpr 50
		.amdhsa_accum_offset 32
		.amdhsa_reserve_vcc 1
		.amdhsa_float_round_mode_32 0
		.amdhsa_float_round_mode_16_64 0
		.amdhsa_float_denorm_mode_32 3
		.amdhsa_float_denorm_mode_16_64 3
		.amdhsa_dx10_clamp 1
		.amdhsa_ieee_mode 1
		.amdhsa_fp16_overflow 0
		.amdhsa_tg_split 0
		.amdhsa_exception_fp_ieee_invalid_op 0
		.amdhsa_exception_fp_denorm_src 0
		.amdhsa_exception_fp_ieee_div_zero 0
		.amdhsa_exception_fp_ieee_overflow 0
		.amdhsa_exception_fp_ieee_underflow 0
		.amdhsa_exception_fp_ieee_inexact 0
		.amdhsa_exception_int_div_zero 0
	.end_amdhsa_kernel
	.section	.text._ZN9rocsparseL31bsrmm_large_blockdim_kernel_extILj4ELj16ELj2EllffffEEvb20rocsparse_direction_T3_S2_llNS_24const_host_device_scalarIT7_EEPKT2_PKS2_PKT4_S2_PKT5_llS5_PT6_ll16rocsparse_order_21rocsparse_index_base_b,"axG",@progbits,_ZN9rocsparseL31bsrmm_large_blockdim_kernel_extILj4ELj16ELj2EllffffEEvb20rocsparse_direction_T3_S2_llNS_24const_host_device_scalarIT7_EEPKT2_PKS2_PKT4_S2_PKT5_llS5_PT6_ll16rocsparse_order_21rocsparse_index_base_b,comdat
.Lfunc_end9:
	.size	_ZN9rocsparseL31bsrmm_large_blockdim_kernel_extILj4ELj16ELj2EllffffEEvb20rocsparse_direction_T3_S2_llNS_24const_host_device_scalarIT7_EEPKT2_PKS2_PKT4_S2_PKT5_llS5_PT6_ll16rocsparse_order_21rocsparse_index_base_b, .Lfunc_end9-_ZN9rocsparseL31bsrmm_large_blockdim_kernel_extILj4ELj16ELj2EllffffEEvb20rocsparse_direction_T3_S2_llNS_24const_host_device_scalarIT7_EEPKT2_PKS2_PKT4_S2_PKT5_llS5_PT6_ll16rocsparse_order_21rocsparse_index_base_b
                                        ; -- End function
	.set _ZN9rocsparseL31bsrmm_large_blockdim_kernel_extILj4ELj16ELj2EllffffEEvb20rocsparse_direction_T3_S2_llNS_24const_host_device_scalarIT7_EEPKT2_PKS2_PKT4_S2_PKT5_llS5_PT6_ll16rocsparse_order_21rocsparse_index_base_b.num_vgpr, 30
	.set _ZN9rocsparseL31bsrmm_large_blockdim_kernel_extILj4ELj16ELj2EllffffEEvb20rocsparse_direction_T3_S2_llNS_24const_host_device_scalarIT7_EEPKT2_PKS2_PKT4_S2_PKT5_llS5_PT6_ll16rocsparse_order_21rocsparse_index_base_b.num_agpr, 0
	.set _ZN9rocsparseL31bsrmm_large_blockdim_kernel_extILj4ELj16ELj2EllffffEEvb20rocsparse_direction_T3_S2_llNS_24const_host_device_scalarIT7_EEPKT2_PKS2_PKT4_S2_PKT5_llS5_PT6_ll16rocsparse_order_21rocsparse_index_base_b.numbered_sgpr, 50
	.set _ZN9rocsparseL31bsrmm_large_blockdim_kernel_extILj4ELj16ELj2EllffffEEvb20rocsparse_direction_T3_S2_llNS_24const_host_device_scalarIT7_EEPKT2_PKS2_PKT4_S2_PKT5_llS5_PT6_ll16rocsparse_order_21rocsparse_index_base_b.num_named_barrier, 0
	.set _ZN9rocsparseL31bsrmm_large_blockdim_kernel_extILj4ELj16ELj2EllffffEEvb20rocsparse_direction_T3_S2_llNS_24const_host_device_scalarIT7_EEPKT2_PKS2_PKT4_S2_PKT5_llS5_PT6_ll16rocsparse_order_21rocsparse_index_base_b.private_seg_size, 0
	.set _ZN9rocsparseL31bsrmm_large_blockdim_kernel_extILj4ELj16ELj2EllffffEEvb20rocsparse_direction_T3_S2_llNS_24const_host_device_scalarIT7_EEPKT2_PKS2_PKT4_S2_PKT5_llS5_PT6_ll16rocsparse_order_21rocsparse_index_base_b.uses_vcc, 1
	.set _ZN9rocsparseL31bsrmm_large_blockdim_kernel_extILj4ELj16ELj2EllffffEEvb20rocsparse_direction_T3_S2_llNS_24const_host_device_scalarIT7_EEPKT2_PKS2_PKT4_S2_PKT5_llS5_PT6_ll16rocsparse_order_21rocsparse_index_base_b.uses_flat_scratch, 0
	.set _ZN9rocsparseL31bsrmm_large_blockdim_kernel_extILj4ELj16ELj2EllffffEEvb20rocsparse_direction_T3_S2_llNS_24const_host_device_scalarIT7_EEPKT2_PKS2_PKT4_S2_PKT5_llS5_PT6_ll16rocsparse_order_21rocsparse_index_base_b.has_dyn_sized_stack, 0
	.set _ZN9rocsparseL31bsrmm_large_blockdim_kernel_extILj4ELj16ELj2EllffffEEvb20rocsparse_direction_T3_S2_llNS_24const_host_device_scalarIT7_EEPKT2_PKS2_PKT4_S2_PKT5_llS5_PT6_ll16rocsparse_order_21rocsparse_index_base_b.has_recursion, 0
	.set _ZN9rocsparseL31bsrmm_large_blockdim_kernel_extILj4ELj16ELj2EllffffEEvb20rocsparse_direction_T3_S2_llNS_24const_host_device_scalarIT7_EEPKT2_PKS2_PKT4_S2_PKT5_llS5_PT6_ll16rocsparse_order_21rocsparse_index_base_b.has_indirect_call, 0
	.section	.AMDGPU.csdata,"",@progbits
; Kernel info:
; codeLenInByte = 1764
; TotalNumSgprs: 56
; NumVgprs: 30
; NumAgprs: 0
; TotalNumVgprs: 30
; ScratchSize: 0
; MemoryBound: 0
; FloatMode: 240
; IeeeMode: 1
; LDSByteSize: 576 bytes/workgroup (compile time only)
; SGPRBlocks: 6
; VGPRBlocks: 3
; NumSGPRsForWavesPerEU: 56
; NumVGPRsForWavesPerEU: 30
; AccumOffset: 32
; Occupancy: 8
; WaveLimiterHint : 1
; COMPUTE_PGM_RSRC2:SCRATCH_EN: 0
; COMPUTE_PGM_RSRC2:USER_SGPR: 2
; COMPUTE_PGM_RSRC2:TRAP_HANDLER: 0
; COMPUTE_PGM_RSRC2:TGID_X_EN: 1
; COMPUTE_PGM_RSRC2:TGID_Y_EN: 1
; COMPUTE_PGM_RSRC2:TGID_Z_EN: 0
; COMPUTE_PGM_RSRC2:TIDIG_COMP_CNT: 1
; COMPUTE_PGM_RSRC3_GFX90A:ACCUM_OFFSET: 7
; COMPUTE_PGM_RSRC3_GFX90A:TG_SPLIT: 0
	.section	.text._ZN9rocsparseL31bsrmm_large_blockdim_kernel_extILj16ELj16ELj2EllffffEEvb20rocsparse_direction_T3_S2_llNS_24const_host_device_scalarIT7_EEPKT2_PKS2_PKT4_S2_PKT5_llS5_PT6_ll16rocsparse_order_21rocsparse_index_base_b,"axG",@progbits,_ZN9rocsparseL31bsrmm_large_blockdim_kernel_extILj16ELj16ELj2EllffffEEvb20rocsparse_direction_T3_S2_llNS_24const_host_device_scalarIT7_EEPKT2_PKS2_PKT4_S2_PKT5_llS5_PT6_ll16rocsparse_order_21rocsparse_index_base_b,comdat
	.globl	_ZN9rocsparseL31bsrmm_large_blockdim_kernel_extILj16ELj16ELj2EllffffEEvb20rocsparse_direction_T3_S2_llNS_24const_host_device_scalarIT7_EEPKT2_PKS2_PKT4_S2_PKT5_llS5_PT6_ll16rocsparse_order_21rocsparse_index_base_b ; -- Begin function _ZN9rocsparseL31bsrmm_large_blockdim_kernel_extILj16ELj16ELj2EllffffEEvb20rocsparse_direction_T3_S2_llNS_24const_host_device_scalarIT7_EEPKT2_PKS2_PKT4_S2_PKT5_llS5_PT6_ll16rocsparse_order_21rocsparse_index_base_b
	.p2align	8
	.type	_ZN9rocsparseL31bsrmm_large_blockdim_kernel_extILj16ELj16ELj2EllffffEEvb20rocsparse_direction_T3_S2_llNS_24const_host_device_scalarIT7_EEPKT2_PKS2_PKT4_S2_PKT5_llS5_PT6_ll16rocsparse_order_21rocsparse_index_base_b,@function
_ZN9rocsparseL31bsrmm_large_blockdim_kernel_extILj16ELj16ELj2EllffffEEvb20rocsparse_direction_T3_S2_llNS_24const_host_device_scalarIT7_EEPKT2_PKS2_PKT4_S2_PKT5_llS5_PT6_ll16rocsparse_order_21rocsparse_index_base_b: ; @_ZN9rocsparseL31bsrmm_large_blockdim_kernel_extILj16ELj16ELj2EllffffEEvb20rocsparse_direction_T3_S2_llNS_24const_host_device_scalarIT7_EEPKT2_PKS2_PKT4_S2_PKT5_llS5_PT6_ll16rocsparse_order_21rocsparse_index_base_b
; %bb.0:
	s_load_dwordx4 s[16:19], s[0:1], 0x88
	s_mov_b32 s6, s3
	s_waitcnt lgkmcnt(0)
	s_bitcmp1_b32 s18, 0
	s_load_dwordx2 s[18:19], s[0:1], 0x28
	s_load_dwordx2 s[28:29], s[0:1], 0x68
	s_cselect_b64 s[8:9], -1, 0
	s_xor_b64 s[4:5], s[8:9], -1
	s_and_b64 vcc, exec, s[8:9]
	s_cbranch_vccnz .LBB10_2
; %bb.1:
	s_waitcnt lgkmcnt(0)
	s_load_dword s18, s[18:19], 0x0
.LBB10_2:
	s_andn2_b64 vcc, exec, s[4:5]
	s_cbranch_vccnz .LBB10_4
; %bb.3:
	s_waitcnt lgkmcnt(0)
	s_load_dword s28, s[28:29], 0x0
.LBB10_4:
	s_waitcnt lgkmcnt(0)
	v_cmp_eq_f32_e64 s[4:5], s18, 0
	v_cmp_eq_f32_e64 s[8:9], s28, 1.0
	s_and_b64 s[4:5], s[4:5], s[8:9]
	s_and_b64 vcc, exec, s[4:5]
	s_cbranch_vccnz .LBB10_48
; %bb.5:
	s_load_dwordx4 s[12:15], s[0:1], 0x8
	s_load_dwordx2 s[8:9], s[0:1], 0x30
	s_ashr_i32 s3, s2, 31
	v_mov_b64_e32 v[2:3], s[2:3]
	s_mov_b64 s[34:35], 0
	s_waitcnt lgkmcnt(0)
	v_cmp_le_i64_e32 vcc, s[12:13], v[2:3]
	v_cmp_gt_i64_e64 s[4:5], s[12:13], v[2:3]
	s_mov_b64 s[36:37], 0
	s_cbranch_vccnz .LBB10_7
; %bb.6:
	s_lshl_b64 s[10:11], s[2:3], 3
	s_add_u32 s10, s8, s10
	s_addc_u32 s11, s9, s11
	s_load_dwordx2 s[10:11], s[10:11], 0x0
	s_waitcnt lgkmcnt(0)
	s_sub_u32 s36, s10, s17
	s_subb_u32 s37, s11, 0
.LBB10_7:
	s_andn2_b64 vcc, exec, s[4:5]
	s_cbranch_vccnz .LBB10_9
; %bb.8:
	s_lshl_b64 s[10:11], s[2:3], 3
	s_add_u32 s8, s8, s10
	s_addc_u32 s9, s9, s11
	s_load_dwordx2 s[8:9], s[8:9], 0x8
	s_waitcnt lgkmcnt(0)
	s_sub_u32 s34, s8, s17
	s_subb_u32 s35, s9, 0
.LBB10_9:
	s_load_dwordx2 s[30:31], s[0:1], 0x70
	s_load_dwordx2 s[38:39], s[0:1], 0x48
	v_bfe_u32 v10, v0, 10, 10
	v_lshl_add_u32 v4, s6, 5, v10
	v_mov_b32_e32 v5, 0
	v_and_b32_e32 v6, 0x3ff, v0
	v_mov_b64_e32 v[0:1], s[34:35]
	v_add_u32_e32 v2, 16, v4
	v_mov_b32_e32 v3, v5
	v_mov_b32_e32 v7, v5
	v_cmp_ge_i64_e32 vcc, s[36:37], v[0:1]
	s_waitcnt lgkmcnt(0)
	v_cmp_gt_i64_e64 s[6:7], s[38:39], v[6:7]
	v_cmp_gt_i64_e64 s[8:9], s[14:15], v[4:5]
	v_cmp_gt_i64_e64 s[10:11], s[14:15], v[2:3]
	s_cbranch_vccnz .LBB10_27
; %bb.10:
	s_load_dwordx4 s[24:27], s[0:1], 0x38
	s_load_dwordx2 s[42:43], s[0:1], 0x0
	s_mul_i32 s3, s38, s39
	s_mul_hi_u32 s12, s38, s38
	v_mov_b32_e32 v11, v5
	s_add_i32 s12, s12, s3
	v_cmp_gt_i64_e32 vcc, s[38:39], v[10:11]
	s_add_i32 s3, s12, s3
	s_and_b64 s[40:41], s[6:7], vcc
	s_waitcnt lgkmcnt(0)
	s_bitcmp1_b32 s42, 0
	s_cselect_b64 s[12:13], -1, 0
	s_cmp_eq_u32 s43, 0
	v_mad_u64_u32 v[12:13], s[42:43], s38, v10, 0
	v_mov_b32_e32 v14, v13
	v_lshlrev_b32_e32 v0, 2, v10
	v_lshlrev_b32_e32 v20, 6, v10
	v_mad_u64_u32 v[10:11], s[42:43], s39, v10, v[14:15]
	v_mov_b32_e32 v13, v10
	v_lshlrev_b32_e32 v16, 2, v6
	v_mov_b32_e32 v17, v5
	v_lshl_add_u64 v[10:11], v[12:13], 2, s[26:27]
	s_load_dwordx4 s[20:23], s[0:1], 0x50
	v_lshl_add_u64 v[14:15], v[10:11], 0, v[16:17]
	v_mad_u64_u32 v[10:11], s[42:43], s38, v6, 0
	v_mov_b32_e32 v12, v11
	v_mad_u64_u32 v[12:13], s[42:43], s39, v6, v[12:13]
	v_mov_b32_e32 v11, v12
	v_lshl_add_u64 v[10:11], v[10:11], 2, s[26:27]
	v_mov_b32_e32 v1, v5
	v_add_u32_e32 v23, 0x800, v0
	v_lshl_add_u64 v[0:1], v[10:11], 0, v[0:1]
	s_waitcnt lgkmcnt(0)
	v_mad_u64_u32 v[10:11], s[26:27], s22, v4, 0
	v_mov_b32_e32 v12, v11
	v_mad_u64_u32 v[12:13], s[26:27], s23, v4, v[12:13]
	v_mov_b32_e32 v11, v12
	;; [unrolled: 2-line block ×3, first 2 shown]
	v_lshl_add_u64 v[8:9], s[20:21], 0, v[16:17]
	s_cselect_b64 vcc, -1, 0
	v_lshlrev_b32_e32 v17, 6, v6
	v_cmp_gt_i64_e64 s[42:43], s[38:39], 0
	v_mad_u64_u32 v[18:19], s[26:27], s23, v2, v[18:19]
	s_mul_i32 s19, s38, s38
	v_mov_b32_e32 v13, v18
	s_and_b64 s[26:27], s[8:9], s[42:43]
	s_and_b64 s[42:43], s[10:11], s[42:43]
	v_cndmask_b32_e32 v15, v15, v1, vcc
	v_cndmask_b32_e32 v14, v14, v0, vcc
	v_add_u32_e32 v21, 0x800, v17
	v_add_u32_e32 v22, 0x400, v20
	v_mov_b32_e32 v0, v5
	v_mov_b32_e32 v1, v5
	v_add_u32_e32 v23, v23, v17
	v_add_u32_e32 v24, v16, v20
	s_branch .LBB10_13
.LBB10_11:                              ;   in Loop: Header=BB10_13 Depth=1
	s_or_b64 exec, exec, s[46:47]
.LBB10_12:                              ;   in Loop: Header=BB10_13 Depth=1
	s_or_b64 exec, exec, s[44:45]
	s_add_u32 s36, s36, 1
	s_addc_u32 s37, s37, 0
	v_mov_b64_e32 v[16:17], s[34:35]
	v_cmp_ge_i64_e32 vcc, s[36:37], v[16:17]
	s_barrier
	s_cbranch_vccnz .LBB10_28
.LBB10_13:                              ; =>This Loop Header: Depth=1
                                        ;     Child Loop BB10_23 Depth 2
                                        ;     Child Loop BB10_26 Depth 2
	s_and_saveexec_b64 s[44:45], s[6:7]
	s_cbranch_execz .LBB10_18
; %bb.14:                               ;   in Loop: Header=BB10_13 Depth=1
	s_lshl_b64 s[46:47], s[36:37], 3
	s_add_u32 s46, s24, s46
	s_addc_u32 s47, s25, s47
	s_load_dwordx2 s[46:47], s[46:47], 0x0
	v_mov_b32_e32 v16, s38
	s_waitcnt lgkmcnt(0)
	s_sub_u32 s29, s46, s17
	s_subb_u32 s33, s47, 0
	s_mul_i32 s48, s29, s39
	s_mul_i32 s33, s33, s38
	s_add_i32 s33, s48, s33
	v_mad_u64_u32 v[16:17], s[48:49], s29, v16, v[6:7]
	v_add_u32_e32 v17, s33, v17
	s_mul_hi_u32 s47, s29, s38
	v_mul_lo_u32 v18, v17, s22
	v_mul_lo_u32 v19, v16, s23
	v_mad_u64_u32 v[16:17], s[48:49], v16, s22, 0
	s_mul_i32 s46, s29, s38
	s_add_i32 s47, s33, s47
	v_add3_u32 v17, v17, v19, v18
	v_lshl_add_u64 v[16:17], v[16:17], 2, s[20:21]
	v_lshl_add_u64 v[18:19], s[46:47], 2, v[8:9]
	s_and_saveexec_b64 s[46:47], s[8:9]
	s_cbranch_execz .LBB10_16
; %bb.15:                               ;   in Loop: Header=BB10_13 Depth=1
	v_lshl_add_u64 v[26:27], v[4:5], 2, v[16:17]
	v_lshl_add_u64 v[28:29], v[10:11], 2, v[18:19]
	v_cndmask_b32_e64 v27, v27, v29, s[12:13]
	v_cndmask_b32_e64 v26, v26, v28, s[12:13]
	global_load_dword v25, v[26:27], off
	s_waitcnt vmcnt(0)
	ds_write_b32 v24, v25
.LBB10_16:                              ;   in Loop: Header=BB10_13 Depth=1
	s_or_b64 exec, exec, s[46:47]
	s_and_b64 exec, exec, s[10:11]
	s_cbranch_execz .LBB10_18
; %bb.17:                               ;   in Loop: Header=BB10_13 Depth=1
	v_lshl_add_u64 v[18:19], v[12:13], 2, v[18:19]
	v_lshl_add_u64 v[16:17], v[2:3], 2, v[16:17]
	v_cndmask_b32_e64 v17, v17, v19, s[12:13]
	v_cndmask_b32_e64 v16, v16, v18, s[12:13]
	global_load_dword v16, v[16:17], off
	s_waitcnt vmcnt(0)
	ds_write_b32 v24, v16 offset:1024
.LBB10_18:                              ;   in Loop: Header=BB10_13 Depth=1
	s_or_b64 exec, exec, s[44:45]
	s_and_saveexec_b64 s[44:45], s[40:41]
	s_cbranch_execz .LBB10_20
; %bb.19:                               ;   in Loop: Header=BB10_13 Depth=1
	s_mul_i32 s29, s19, s37
	s_mul_hi_u32 s33, s19, s36
	s_add_i32 s29, s33, s29
	s_mul_i32 s33, s3, s36
	s_add_i32 s47, s29, s33
	s_mul_i32 s46, s19, s36
	v_lshl_add_u64 v[16:17], s[46:47], 2, v[14:15]
	global_load_dword v16, v[16:17], off
	s_waitcnt vmcnt(0)
	ds_write_b32 v23, v16
.LBB10_20:                              ;   in Loop: Header=BB10_13 Depth=1
	s_or_b64 exec, exec, s[44:45]
	s_waitcnt lgkmcnt(0)
	s_barrier
	s_and_saveexec_b64 s[44:45], s[6:7]
	s_cbranch_execz .LBB10_12
; %bb.21:                               ;   in Loop: Header=BB10_13 Depth=1
	s_and_saveexec_b64 s[46:47], s[26:27]
	s_cbranch_execz .LBB10_24
; %bb.22:                               ;   in Loop: Header=BB10_13 Depth=1
	v_mov_b32_e32 v16, v21
	v_mov_b32_e32 v17, v20
	s_mov_b64 s[48:49], s[38:39]
.LBB10_23:                              ;   Parent Loop BB10_13 Depth=1
                                        ; =>  This Inner Loop Header: Depth=2
	ds_read_b32 v18, v16
	ds_read_b32 v19, v17
	s_add_u32 s48, s48, -1
	s_addc_u32 s49, s49, -1
	v_add_u32_e32 v17, 4, v17
	v_add_u32_e32 v16, 4, v16
	s_cmp_lg_u64 s[48:49], 0
	s_waitcnt lgkmcnt(0)
	v_fma_f32 v0, v18, v19, v0
	s_cbranch_scc1 .LBB10_23
.LBB10_24:                              ;   in Loop: Header=BB10_13 Depth=1
	s_or_b64 exec, exec, s[46:47]
	s_and_saveexec_b64 s[46:47], s[42:43]
	s_cbranch_execz .LBB10_11
; %bb.25:                               ;   in Loop: Header=BB10_13 Depth=1
	v_mov_b32_e32 v16, v21
	v_mov_b32_e32 v17, v22
	s_mov_b64 s[48:49], s[38:39]
.LBB10_26:                              ;   Parent Loop BB10_13 Depth=1
                                        ; =>  This Inner Loop Header: Depth=2
	ds_read_b32 v18, v16
	ds_read_b32 v19, v17
	s_add_u32 s48, s48, -1
	s_addc_u32 s49, s49, -1
	v_add_u32_e32 v17, 4, v17
	v_add_u32_e32 v16, 4, v16
	s_cmp_lg_u64 s[48:49], 0
	s_waitcnt lgkmcnt(0)
	v_fma_f32 v1, v18, v19, v1
	s_cbranch_scc1 .LBB10_26
	s_branch .LBB10_11
.LBB10_27:
	v_mov_b32_e32 v0, v5
	v_mov_b32_e32 v1, v5
.LBB10_28:
	s_and_b64 s[4:5], s[4:5], s[6:7]
	s_and_saveexec_b64 s[6:7], s[4:5]
	s_cbranch_execz .LBB10_48
; %bb.29:
	v_mov_b32_e32 v8, s2
	v_mad_u64_u32 v[6:7], s[4:5], s38, v8, v[6:7]
	s_mul_i32 s4, s39, s2
	s_load_dwordx2 s[2:3], s[0:1], 0x78
	v_add_u32_e32 v7, s4, v7
	s_cmp_lg_u32 s16, 1
	v_cmp_neq_f32_e64 s[0:1], s28, 0
	s_cselect_b64 s[4:5], -1, 0
	s_waitcnt lgkmcnt(0)
	v_mul_lo_u32 v10, s3, v6
	v_mul_lo_u32 v11, s2, v7
	v_mad_u64_u32 v[8:9], s[6:7], s2, v6, 0
	v_add3_u32 v9, v9, v11, v10
	v_lshl_add_u64 v[8:9], v[8:9], 2, s[30:31]
	v_lshl_add_u64 v[6:7], v[6:7], 2, s[30:31]
	v_cmp_gt_i64_e32 vcc, s[14:15], v[4:5]
	s_and_saveexec_b64 s[6:7], vcc
	s_cbranch_execz .LBB10_41
; %bb.30:
	s_mov_b64 s[8:9], -1
	s_and_b64 vcc, exec, s[0:1]
	s_cbranch_vccz .LBB10_36
; %bb.31:
	s_and_b64 vcc, exec, s[4:5]
	s_cbranch_vccz .LBB10_33
; %bb.32:
	v_lshl_add_u64 v[10:11], v[4:5], 2, v[8:9]
	global_load_dword v12, v[10:11], off
	v_mul_f32_e32 v13, s18, v0
	s_mov_b64 s[8:9], 0
	s_waitcnt vmcnt(0)
	v_fmac_f32_e32 v13, s28, v12
	global_store_dword v[10:11], v13, off
.LBB10_33:
	s_andn2_b64 vcc, exec, s[8:9]
	s_cbranch_vccnz .LBB10_35
; %bb.34:
	v_mad_u64_u32 v[10:11], s[8:9], s2, v4, 0
	v_mov_b32_e32 v12, v11
	v_mad_u64_u32 v[12:13], s[8:9], s3, v4, v[12:13]
	v_mov_b32_e32 v11, v12
	v_lshl_add_u64 v[10:11], v[10:11], 2, v[6:7]
	global_load_dword v12, v[10:11], off
	v_mul_f32_e32 v13, s18, v0
	s_waitcnt vmcnt(0)
	v_fmac_f32_e32 v13, s28, v12
	global_store_dword v[10:11], v13, off
.LBB10_35:
	s_mov_b64 s[8:9], 0
.LBB10_36:
	s_andn2_b64 vcc, exec, s[8:9]
	s_cbranch_vccnz .LBB10_41
; %bb.37:
	v_mul_f32_e32 v0, s18, v0
	s_mov_b64 s[8:9], -1
	s_and_b64 vcc, exec, s[4:5]
	s_cbranch_vccz .LBB10_39
; %bb.38:
	v_lshl_add_u64 v[10:11], v[4:5], 2, v[8:9]
	global_store_dword v[10:11], v0, off
	s_mov_b64 s[8:9], 0
.LBB10_39:
	s_andn2_b64 vcc, exec, s[8:9]
	s_cbranch_vccnz .LBB10_41
; %bb.40:
	v_mad_u64_u32 v[10:11], s[8:9], s2, v4, 0
	v_mov_b32_e32 v12, v11
	v_mad_u64_u32 v[4:5], s[8:9], s3, v4, v[12:13]
	v_mov_b32_e32 v11, v4
	v_lshl_add_u64 v[4:5], v[10:11], 2, v[6:7]
	global_store_dword v[4:5], v0, off
.LBB10_41:
	s_or_b64 exec, exec, s[6:7]
	v_cmp_gt_i64_e32 vcc, s[14:15], v[2:3]
	s_and_b64 exec, exec, vcc
	s_cbranch_execz .LBB10_48
; %bb.42:
	v_cndmask_b32_e64 v0, 0, 1, s[4:5]
	s_andn2_b64 vcc, exec, s[0:1]
	v_cmp_ne_u32_e64 s[0:1], 1, v0
	s_cbranch_vccnz .LBB10_49
; %bb.43:
	s_and_b64 vcc, exec, s[0:1]
	s_mov_b64 s[4:5], -1
	s_cbranch_vccnz .LBB10_45
; %bb.44:
	v_lshl_add_u64 v[4:5], v[2:3], 2, v[8:9]
	global_load_dword v0, v[4:5], off
	v_mul_f32_e32 v10, s18, v1
	s_mov_b64 s[4:5], 0
	s_waitcnt vmcnt(0)
	v_fmac_f32_e32 v10, s28, v0
	global_store_dword v[4:5], v10, off
.LBB10_45:
	s_andn2_b64 vcc, exec, s[4:5]
	s_cbranch_vccnz .LBB10_47
; %bb.46:
	v_mad_u64_u32 v[4:5], s[4:5], s2, v2, 0
	v_mov_b32_e32 v0, v5
	v_mad_u64_u32 v[10:11], s[4:5], s3, v2, v[0:1]
	v_mov_b32_e32 v5, v10
	v_lshl_add_u64 v[4:5], v[4:5], 2, v[6:7]
	global_load_dword v0, v[4:5], off
	v_mul_f32_e32 v10, s18, v1
	s_waitcnt vmcnt(0)
	v_fmac_f32_e32 v10, s28, v0
	global_store_dword v[4:5], v10, off
.LBB10_47:
	s_cbranch_execz .LBB10_50
.LBB10_48:
	s_endpgm
.LBB10_49:
.LBB10_50:
	v_mul_f32_e32 v0, s18, v1
	s_and_b64 vcc, exec, s[0:1]
	s_mov_b64 s[0:1], -1
	s_cbranch_vccnz .LBB10_52
; %bb.51:
	v_lshl_add_u64 v[4:5], v[2:3], 2, v[8:9]
	s_mov_b64 s[0:1], 0
	global_store_dword v[4:5], v0, off
.LBB10_52:
	s_andn2_b64 vcc, exec, s[0:1]
	s_cbranch_vccnz .LBB10_48
; %bb.53:
	v_mad_u64_u32 v[4:5], s[0:1], s2, v2, 0
	v_mov_b32_e32 v8, v5
	v_mad_u64_u32 v[2:3], s[0:1], s3, v2, v[8:9]
	v_mov_b32_e32 v5, v2
	v_lshl_add_u64 v[2:3], v[4:5], 2, v[6:7]
	global_store_dword v[2:3], v0, off
	s_endpgm
	.section	.rodata,"a",@progbits
	.p2align	6, 0x0
	.amdhsa_kernel _ZN9rocsparseL31bsrmm_large_blockdim_kernel_extILj16ELj16ELj2EllffffEEvb20rocsparse_direction_T3_S2_llNS_24const_host_device_scalarIT7_EEPKT2_PKS2_PKT4_S2_PKT5_llS5_PT6_ll16rocsparse_order_21rocsparse_index_base_b
		.amdhsa_group_segment_fixed_size 3072
		.amdhsa_private_segment_fixed_size 0
		.amdhsa_kernarg_size 148
		.amdhsa_user_sgpr_count 2
		.amdhsa_user_sgpr_dispatch_ptr 0
		.amdhsa_user_sgpr_queue_ptr 0
		.amdhsa_user_sgpr_kernarg_segment_ptr 1
		.amdhsa_user_sgpr_dispatch_id 0
		.amdhsa_user_sgpr_kernarg_preload_length 0
		.amdhsa_user_sgpr_kernarg_preload_offset 0
		.amdhsa_user_sgpr_private_segment_size 0
		.amdhsa_uses_dynamic_stack 0
		.amdhsa_enable_private_segment 0
		.amdhsa_system_sgpr_workgroup_id_x 1
		.amdhsa_system_sgpr_workgroup_id_y 1
		.amdhsa_system_sgpr_workgroup_id_z 0
		.amdhsa_system_sgpr_workgroup_info 0
		.amdhsa_system_vgpr_workitem_id 1
		.amdhsa_next_free_vgpr 30
		.amdhsa_next_free_sgpr 50
		.amdhsa_accum_offset 32
		.amdhsa_reserve_vcc 1
		.amdhsa_float_round_mode_32 0
		.amdhsa_float_round_mode_16_64 0
		.amdhsa_float_denorm_mode_32 3
		.amdhsa_float_denorm_mode_16_64 3
		.amdhsa_dx10_clamp 1
		.amdhsa_ieee_mode 1
		.amdhsa_fp16_overflow 0
		.amdhsa_tg_split 0
		.amdhsa_exception_fp_ieee_invalid_op 0
		.amdhsa_exception_fp_denorm_src 0
		.amdhsa_exception_fp_ieee_div_zero 0
		.amdhsa_exception_fp_ieee_overflow 0
		.amdhsa_exception_fp_ieee_underflow 0
		.amdhsa_exception_fp_ieee_inexact 0
		.amdhsa_exception_int_div_zero 0
	.end_amdhsa_kernel
	.section	.text._ZN9rocsparseL31bsrmm_large_blockdim_kernel_extILj16ELj16ELj2EllffffEEvb20rocsparse_direction_T3_S2_llNS_24const_host_device_scalarIT7_EEPKT2_PKS2_PKT4_S2_PKT5_llS5_PT6_ll16rocsparse_order_21rocsparse_index_base_b,"axG",@progbits,_ZN9rocsparseL31bsrmm_large_blockdim_kernel_extILj16ELj16ELj2EllffffEEvb20rocsparse_direction_T3_S2_llNS_24const_host_device_scalarIT7_EEPKT2_PKS2_PKT4_S2_PKT5_llS5_PT6_ll16rocsparse_order_21rocsparse_index_base_b,comdat
.Lfunc_end10:
	.size	_ZN9rocsparseL31bsrmm_large_blockdim_kernel_extILj16ELj16ELj2EllffffEEvb20rocsparse_direction_T3_S2_llNS_24const_host_device_scalarIT7_EEPKT2_PKS2_PKT4_S2_PKT5_llS5_PT6_ll16rocsparse_order_21rocsparse_index_base_b, .Lfunc_end10-_ZN9rocsparseL31bsrmm_large_blockdim_kernel_extILj16ELj16ELj2EllffffEEvb20rocsparse_direction_T3_S2_llNS_24const_host_device_scalarIT7_EEPKT2_PKS2_PKT4_S2_PKT5_llS5_PT6_ll16rocsparse_order_21rocsparse_index_base_b
                                        ; -- End function
	.set _ZN9rocsparseL31bsrmm_large_blockdim_kernel_extILj16ELj16ELj2EllffffEEvb20rocsparse_direction_T3_S2_llNS_24const_host_device_scalarIT7_EEPKT2_PKS2_PKT4_S2_PKT5_llS5_PT6_ll16rocsparse_order_21rocsparse_index_base_b.num_vgpr, 30
	.set _ZN9rocsparseL31bsrmm_large_blockdim_kernel_extILj16ELj16ELj2EllffffEEvb20rocsparse_direction_T3_S2_llNS_24const_host_device_scalarIT7_EEPKT2_PKS2_PKT4_S2_PKT5_llS5_PT6_ll16rocsparse_order_21rocsparse_index_base_b.num_agpr, 0
	.set _ZN9rocsparseL31bsrmm_large_blockdim_kernel_extILj16ELj16ELj2EllffffEEvb20rocsparse_direction_T3_S2_llNS_24const_host_device_scalarIT7_EEPKT2_PKS2_PKT4_S2_PKT5_llS5_PT6_ll16rocsparse_order_21rocsparse_index_base_b.numbered_sgpr, 50
	.set _ZN9rocsparseL31bsrmm_large_blockdim_kernel_extILj16ELj16ELj2EllffffEEvb20rocsparse_direction_T3_S2_llNS_24const_host_device_scalarIT7_EEPKT2_PKS2_PKT4_S2_PKT5_llS5_PT6_ll16rocsparse_order_21rocsparse_index_base_b.num_named_barrier, 0
	.set _ZN9rocsparseL31bsrmm_large_blockdim_kernel_extILj16ELj16ELj2EllffffEEvb20rocsparse_direction_T3_S2_llNS_24const_host_device_scalarIT7_EEPKT2_PKS2_PKT4_S2_PKT5_llS5_PT6_ll16rocsparse_order_21rocsparse_index_base_b.private_seg_size, 0
	.set _ZN9rocsparseL31bsrmm_large_blockdim_kernel_extILj16ELj16ELj2EllffffEEvb20rocsparse_direction_T3_S2_llNS_24const_host_device_scalarIT7_EEPKT2_PKS2_PKT4_S2_PKT5_llS5_PT6_ll16rocsparse_order_21rocsparse_index_base_b.uses_vcc, 1
	.set _ZN9rocsparseL31bsrmm_large_blockdim_kernel_extILj16ELj16ELj2EllffffEEvb20rocsparse_direction_T3_S2_llNS_24const_host_device_scalarIT7_EEPKT2_PKS2_PKT4_S2_PKT5_llS5_PT6_ll16rocsparse_order_21rocsparse_index_base_b.uses_flat_scratch, 0
	.set _ZN9rocsparseL31bsrmm_large_blockdim_kernel_extILj16ELj16ELj2EllffffEEvb20rocsparse_direction_T3_S2_llNS_24const_host_device_scalarIT7_EEPKT2_PKS2_PKT4_S2_PKT5_llS5_PT6_ll16rocsparse_order_21rocsparse_index_base_b.has_dyn_sized_stack, 0
	.set _ZN9rocsparseL31bsrmm_large_blockdim_kernel_extILj16ELj16ELj2EllffffEEvb20rocsparse_direction_T3_S2_llNS_24const_host_device_scalarIT7_EEPKT2_PKS2_PKT4_S2_PKT5_llS5_PT6_ll16rocsparse_order_21rocsparse_index_base_b.has_recursion, 0
	.set _ZN9rocsparseL31bsrmm_large_blockdim_kernel_extILj16ELj16ELj2EllffffEEvb20rocsparse_direction_T3_S2_llNS_24const_host_device_scalarIT7_EEPKT2_PKS2_PKT4_S2_PKT5_llS5_PT6_ll16rocsparse_order_21rocsparse_index_base_b.has_indirect_call, 0
	.section	.AMDGPU.csdata,"",@progbits
; Kernel info:
; codeLenInByte = 1772
; TotalNumSgprs: 56
; NumVgprs: 30
; NumAgprs: 0
; TotalNumVgprs: 30
; ScratchSize: 0
; MemoryBound: 0
; FloatMode: 240
; IeeeMode: 1
; LDSByteSize: 3072 bytes/workgroup (compile time only)
; SGPRBlocks: 6
; VGPRBlocks: 3
; NumSGPRsForWavesPerEU: 56
; NumVGPRsForWavesPerEU: 30
; AccumOffset: 32
; Occupancy: 8
; WaveLimiterHint : 1
; COMPUTE_PGM_RSRC2:SCRATCH_EN: 0
; COMPUTE_PGM_RSRC2:USER_SGPR: 2
; COMPUTE_PGM_RSRC2:TRAP_HANDLER: 0
; COMPUTE_PGM_RSRC2:TGID_X_EN: 1
; COMPUTE_PGM_RSRC2:TGID_Y_EN: 1
; COMPUTE_PGM_RSRC2:TGID_Z_EN: 0
; COMPUTE_PGM_RSRC2:TIDIG_COMP_CNT: 1
; COMPUTE_PGM_RSRC3_GFX90A:ACCUM_OFFSET: 7
; COMPUTE_PGM_RSRC3_GFX90A:TG_SPLIT: 0
	.section	.text._ZN9rocsparseL31bsrmm_large_blockdim_kernel_extILj32ELj32ELj2EllffffEEvb20rocsparse_direction_T3_S2_llNS_24const_host_device_scalarIT7_EEPKT2_PKS2_PKT4_S2_PKT5_llS5_PT6_ll16rocsparse_order_21rocsparse_index_base_b,"axG",@progbits,_ZN9rocsparseL31bsrmm_large_blockdim_kernel_extILj32ELj32ELj2EllffffEEvb20rocsparse_direction_T3_S2_llNS_24const_host_device_scalarIT7_EEPKT2_PKS2_PKT4_S2_PKT5_llS5_PT6_ll16rocsparse_order_21rocsparse_index_base_b,comdat
	.globl	_ZN9rocsparseL31bsrmm_large_blockdim_kernel_extILj32ELj32ELj2EllffffEEvb20rocsparse_direction_T3_S2_llNS_24const_host_device_scalarIT7_EEPKT2_PKS2_PKT4_S2_PKT5_llS5_PT6_ll16rocsparse_order_21rocsparse_index_base_b ; -- Begin function _ZN9rocsparseL31bsrmm_large_blockdim_kernel_extILj32ELj32ELj2EllffffEEvb20rocsparse_direction_T3_S2_llNS_24const_host_device_scalarIT7_EEPKT2_PKS2_PKT4_S2_PKT5_llS5_PT6_ll16rocsparse_order_21rocsparse_index_base_b
	.p2align	8
	.type	_ZN9rocsparseL31bsrmm_large_blockdim_kernel_extILj32ELj32ELj2EllffffEEvb20rocsparse_direction_T3_S2_llNS_24const_host_device_scalarIT7_EEPKT2_PKS2_PKT4_S2_PKT5_llS5_PT6_ll16rocsparse_order_21rocsparse_index_base_b,@function
_ZN9rocsparseL31bsrmm_large_blockdim_kernel_extILj32ELj32ELj2EllffffEEvb20rocsparse_direction_T3_S2_llNS_24const_host_device_scalarIT7_EEPKT2_PKS2_PKT4_S2_PKT5_llS5_PT6_ll16rocsparse_order_21rocsparse_index_base_b: ; @_ZN9rocsparseL31bsrmm_large_blockdim_kernel_extILj32ELj32ELj2EllffffEEvb20rocsparse_direction_T3_S2_llNS_24const_host_device_scalarIT7_EEPKT2_PKS2_PKT4_S2_PKT5_llS5_PT6_ll16rocsparse_order_21rocsparse_index_base_b
; %bb.0:
	s_load_dwordx4 s[16:19], s[0:1], 0x88
	s_mov_b32 s6, s3
	s_waitcnt lgkmcnt(0)
	s_bitcmp1_b32 s18, 0
	s_load_dwordx2 s[18:19], s[0:1], 0x28
	s_load_dwordx2 s[28:29], s[0:1], 0x68
	s_cselect_b64 s[8:9], -1, 0
	s_xor_b64 s[4:5], s[8:9], -1
	s_and_b64 vcc, exec, s[8:9]
	s_cbranch_vccnz .LBB11_2
; %bb.1:
	s_waitcnt lgkmcnt(0)
	s_load_dword s18, s[18:19], 0x0
.LBB11_2:
	s_andn2_b64 vcc, exec, s[4:5]
	s_cbranch_vccnz .LBB11_4
; %bb.3:
	s_waitcnt lgkmcnt(0)
	s_load_dword s28, s[28:29], 0x0
.LBB11_4:
	s_waitcnt lgkmcnt(0)
	v_cmp_eq_f32_e64 s[4:5], s18, 0
	v_cmp_eq_f32_e64 s[8:9], s28, 1.0
	s_and_b64 s[4:5], s[4:5], s[8:9]
	s_and_b64 vcc, exec, s[4:5]
	s_cbranch_vccnz .LBB11_48
; %bb.5:
	s_load_dwordx4 s[12:15], s[0:1], 0x8
	s_load_dwordx2 s[8:9], s[0:1], 0x30
	s_ashr_i32 s3, s2, 31
	v_mov_b64_e32 v[2:3], s[2:3]
	s_mov_b64 s[42:43], 0
	s_waitcnt lgkmcnt(0)
	v_cmp_le_i64_e32 vcc, s[12:13], v[2:3]
	v_cmp_gt_i64_e64 s[4:5], s[12:13], v[2:3]
	s_mov_b64 s[34:35], 0
	s_cbranch_vccnz .LBB11_7
; %bb.6:
	s_lshl_b64 s[10:11], s[2:3], 3
	s_add_u32 s10, s8, s10
	s_addc_u32 s11, s9, s11
	s_load_dwordx2 s[10:11], s[10:11], 0x0
	s_waitcnt lgkmcnt(0)
	s_sub_u32 s34, s10, s17
	s_subb_u32 s35, s11, 0
.LBB11_7:
	s_andn2_b64 vcc, exec, s[4:5]
	s_cbranch_vccnz .LBB11_9
; %bb.8:
	s_lshl_b64 s[10:11], s[2:3], 3
	s_add_u32 s8, s8, s10
	s_addc_u32 s9, s9, s11
	s_load_dwordx2 s[8:9], s[8:9], 0x8
	s_waitcnt lgkmcnt(0)
	s_sub_u32 s42, s8, s17
	s_subb_u32 s43, s9, 0
.LBB11_9:
	s_load_dwordx2 s[30:31], s[0:1], 0x70
	s_load_dwordx2 s[36:37], s[0:1], 0x48
	v_bfe_u32 v10, v0, 10, 10
	v_lshl_add_u32 v4, s6, 6, v10
	v_mov_b32_e32 v5, 0
	v_and_b32_e32 v6, 0x3ff, v0
	v_mov_b64_e32 v[0:1], s[42:43]
	v_add_u32_e32 v2, 32, v4
	v_mov_b32_e32 v3, v5
	v_mov_b32_e32 v7, v5
	v_cmp_ge_i64_e32 vcc, s[34:35], v[0:1]
	s_waitcnt lgkmcnt(0)
	v_cmp_gt_i64_e64 s[6:7], s[36:37], v[6:7]
	v_cmp_gt_i64_e64 s[8:9], s[14:15], v[4:5]
	;; [unrolled: 1-line block ×3, first 2 shown]
	s_cbranch_vccnz .LBB11_27
; %bb.10:
	s_load_dwordx4 s[24:27], s[0:1], 0x38
	s_load_dwordx2 s[40:41], s[0:1], 0x0
	s_mul_i32 s3, s36, s37
	s_mul_hi_u32 s12, s36, s36
	v_mov_b32_e32 v11, v5
	s_add_i32 s12, s12, s3
	v_cmp_gt_i64_e32 vcc, s[36:37], v[10:11]
	s_add_i32 s3, s12, s3
	s_and_b64 s[38:39], s[6:7], vcc
	s_waitcnt lgkmcnt(0)
	s_bitcmp1_b32 s40, 0
	s_cselect_b64 s[12:13], -1, 0
	s_cmp_eq_u32 s41, 0
	v_mad_u64_u32 v[12:13], s[40:41], s36, v10, 0
	v_mov_b32_e32 v14, v13
	v_lshlrev_b32_e32 v0, 2, v10
	v_lshlrev_b32_e32 v22, 7, v10
	v_mad_u64_u32 v[10:11], s[40:41], s37, v10, v[14:15]
	v_mov_b32_e32 v13, v10
	v_lshlrev_b32_e32 v16, 2, v6
	v_mov_b32_e32 v17, v5
	v_lshl_add_u64 v[10:11], v[12:13], 2, s[26:27]
	s_load_dwordx4 s[20:23], s[0:1], 0x50
	v_lshl_add_u64 v[14:15], v[10:11], 0, v[16:17]
	v_mad_u64_u32 v[10:11], s[40:41], s36, v6, 0
	v_mov_b32_e32 v12, v11
	v_mad_u64_u32 v[12:13], s[40:41], s37, v6, v[12:13]
	v_mov_b32_e32 v11, v12
	v_lshl_add_u64 v[10:11], v[10:11], 2, s[26:27]
	v_mov_b32_e32 v1, v5
	v_add_u32_e32 v20, 0x2000, v0
	v_lshl_add_u64 v[0:1], v[10:11], 0, v[0:1]
	s_waitcnt lgkmcnt(0)
	v_mad_u64_u32 v[10:11], s[26:27], s22, v4, 0
	v_mov_b32_e32 v12, v11
	v_mad_u64_u32 v[12:13], s[26:27], s23, v4, v[12:13]
	v_mov_b32_e32 v11, v12
	;; [unrolled: 2-line block ×3, first 2 shown]
	v_lshl_add_u64 v[8:9], s[20:21], 0, v[16:17]
	s_cselect_b64 vcc, -1, 0
	v_lshlrev_b32_e32 v17, 7, v6
	v_cmp_gt_i64_e64 s[40:41], s[36:37], 0
	v_mad_u64_u32 v[18:19], s[26:27], s23, v2, v[18:19]
	s_mul_i32 s19, s36, s36
	v_mov_b32_e32 v13, v18
	s_and_b64 s[26:27], s[8:9], s[40:41]
	s_and_b64 s[40:41], s[10:11], s[40:41]
	v_cndmask_b32_e32 v15, v15, v1, vcc
	v_cndmask_b32_e32 v14, v14, v0, vcc
	v_add_u32_e32 v23, 0x2000, v17
	v_add_u32_e32 v24, 0x1000, v22
	v_mov_b32_e32 v0, v5
	v_mov_b32_e32 v1, v5
	v_add_u32_e32 v25, v16, v22
	v_add_u32_e32 v26, v20, v17
	v_mov_b64_e32 v[16:17], s[42:43]
	s_branch .LBB11_13
.LBB11_11:                              ;   in Loop: Header=BB11_13 Depth=1
	s_or_b64 exec, exec, s[44:45]
.LBB11_12:                              ;   in Loop: Header=BB11_13 Depth=1
	s_or_b64 exec, exec, s[42:43]
	s_add_u32 s34, s34, 1
	s_addc_u32 s35, s35, 0
	v_cmp_ge_i64_e32 vcc, s[34:35], v[16:17]
	s_barrier
	s_cbranch_vccnz .LBB11_28
.LBB11_13:                              ; =>This Loop Header: Depth=1
                                        ;     Child Loop BB11_23 Depth 2
                                        ;     Child Loop BB11_26 Depth 2
	s_and_saveexec_b64 s[42:43], s[6:7]
	s_cbranch_execz .LBB11_18
; %bb.14:                               ;   in Loop: Header=BB11_13 Depth=1
	s_lshl_b64 s[44:45], s[34:35], 3
	s_add_u32 s44, s24, s44
	s_addc_u32 s45, s25, s45
	s_load_dwordx2 s[44:45], s[44:45], 0x0
	v_mov_b32_e32 v18, s36
	s_waitcnt lgkmcnt(0)
	s_sub_u32 s29, s44, s17
	s_subb_u32 s33, s45, 0
	s_mul_i32 s46, s29, s37
	s_mul_i32 s33, s33, s36
	s_add_i32 s33, s46, s33
	v_mad_u64_u32 v[18:19], s[46:47], s29, v18, v[6:7]
	v_add_u32_e32 v19, s33, v19
	s_mul_hi_u32 s45, s29, s36
	v_mul_lo_u32 v20, v19, s22
	v_mul_lo_u32 v21, v18, s23
	v_mad_u64_u32 v[18:19], s[46:47], v18, s22, 0
	s_mul_i32 s44, s29, s36
	s_add_i32 s45, s33, s45
	v_add3_u32 v19, v19, v21, v20
	v_lshl_add_u64 v[18:19], v[18:19], 2, s[20:21]
	v_lshl_add_u64 v[20:21], s[44:45], 2, v[8:9]
	s_and_saveexec_b64 s[44:45], s[8:9]
	s_cbranch_execz .LBB11_16
; %bb.15:                               ;   in Loop: Header=BB11_13 Depth=1
	v_lshl_add_u64 v[28:29], v[4:5], 2, v[18:19]
	v_lshl_add_u64 v[30:31], v[10:11], 2, v[20:21]
	v_cndmask_b32_e64 v29, v29, v31, s[12:13]
	v_cndmask_b32_e64 v28, v28, v30, s[12:13]
	global_load_dword v27, v[28:29], off
	s_waitcnt vmcnt(0)
	ds_write_b32 v25, v27
.LBB11_16:                              ;   in Loop: Header=BB11_13 Depth=1
	s_or_b64 exec, exec, s[44:45]
	s_and_b64 exec, exec, s[10:11]
	s_cbranch_execz .LBB11_18
; %bb.17:                               ;   in Loop: Header=BB11_13 Depth=1
	v_lshl_add_u64 v[20:21], v[12:13], 2, v[20:21]
	v_lshl_add_u64 v[18:19], v[2:3], 2, v[18:19]
	v_cndmask_b32_e64 v19, v19, v21, s[12:13]
	v_cndmask_b32_e64 v18, v18, v20, s[12:13]
	global_load_dword v18, v[18:19], off
	s_waitcnt vmcnt(0)
	ds_write_b32 v25, v18 offset:4096
.LBB11_18:                              ;   in Loop: Header=BB11_13 Depth=1
	s_or_b64 exec, exec, s[42:43]
	s_and_saveexec_b64 s[42:43], s[38:39]
	s_cbranch_execz .LBB11_20
; %bb.19:                               ;   in Loop: Header=BB11_13 Depth=1
	s_mul_i32 s29, s19, s35
	s_mul_hi_u32 s33, s19, s34
	s_add_i32 s29, s33, s29
	s_mul_i32 s33, s3, s34
	s_add_i32 s45, s29, s33
	s_mul_i32 s44, s19, s34
	v_lshl_add_u64 v[18:19], s[44:45], 2, v[14:15]
	global_load_dword v18, v[18:19], off
	s_waitcnt vmcnt(0)
	ds_write_b32 v26, v18
.LBB11_20:                              ;   in Loop: Header=BB11_13 Depth=1
	s_or_b64 exec, exec, s[42:43]
	s_waitcnt lgkmcnt(0)
	s_barrier
	s_and_saveexec_b64 s[42:43], s[6:7]
	s_cbranch_execz .LBB11_12
; %bb.21:                               ;   in Loop: Header=BB11_13 Depth=1
	s_and_saveexec_b64 s[44:45], s[26:27]
	s_cbranch_execz .LBB11_24
; %bb.22:                               ;   in Loop: Header=BB11_13 Depth=1
	v_mov_b32_e32 v18, v23
	v_mov_b32_e32 v19, v22
	s_mov_b64 s[46:47], s[36:37]
.LBB11_23:                              ;   Parent Loop BB11_13 Depth=1
                                        ; =>  This Inner Loop Header: Depth=2
	ds_read_b32 v20, v18
	ds_read_b32 v21, v19
	s_add_u32 s46, s46, -1
	s_addc_u32 s47, s47, -1
	v_add_u32_e32 v19, 4, v19
	v_add_u32_e32 v18, 4, v18
	s_cmp_lg_u64 s[46:47], 0
	s_waitcnt lgkmcnt(0)
	v_fma_f32 v0, v20, v21, v0
	s_cbranch_scc1 .LBB11_23
.LBB11_24:                              ;   in Loop: Header=BB11_13 Depth=1
	s_or_b64 exec, exec, s[44:45]
	s_and_saveexec_b64 s[44:45], s[40:41]
	s_cbranch_execz .LBB11_11
; %bb.25:                               ;   in Loop: Header=BB11_13 Depth=1
	v_mov_b32_e32 v18, v23
	v_mov_b32_e32 v19, v24
	s_mov_b64 s[46:47], s[36:37]
.LBB11_26:                              ;   Parent Loop BB11_13 Depth=1
                                        ; =>  This Inner Loop Header: Depth=2
	ds_read_b32 v20, v18
	ds_read_b32 v21, v19
	s_add_u32 s46, s46, -1
	s_addc_u32 s47, s47, -1
	v_add_u32_e32 v19, 4, v19
	v_add_u32_e32 v18, 4, v18
	s_cmp_lg_u64 s[46:47], 0
	s_waitcnt lgkmcnt(0)
	v_fma_f32 v1, v20, v21, v1
	s_cbranch_scc1 .LBB11_26
	s_branch .LBB11_11
.LBB11_27:
	v_mov_b32_e32 v0, v5
	v_mov_b32_e32 v1, v5
.LBB11_28:
	s_and_b64 s[4:5], s[4:5], s[6:7]
	s_and_saveexec_b64 s[6:7], s[4:5]
	s_cbranch_execz .LBB11_48
; %bb.29:
	v_mov_b32_e32 v8, s2
	v_mad_u64_u32 v[6:7], s[4:5], s36, v8, v[6:7]
	s_mul_i32 s4, s37, s2
	s_load_dwordx2 s[2:3], s[0:1], 0x78
	v_add_u32_e32 v7, s4, v7
	s_cmp_lg_u32 s16, 1
	v_cmp_neq_f32_e64 s[0:1], s28, 0
	s_cselect_b64 s[4:5], -1, 0
	s_waitcnt lgkmcnt(0)
	v_mul_lo_u32 v10, s3, v6
	v_mul_lo_u32 v11, s2, v7
	v_mad_u64_u32 v[8:9], s[6:7], s2, v6, 0
	v_add3_u32 v9, v9, v11, v10
	v_lshl_add_u64 v[8:9], v[8:9], 2, s[30:31]
	v_lshl_add_u64 v[6:7], v[6:7], 2, s[30:31]
	v_cmp_gt_i64_e32 vcc, s[14:15], v[4:5]
	s_and_saveexec_b64 s[6:7], vcc
	s_cbranch_execz .LBB11_41
; %bb.30:
	s_mov_b64 s[8:9], -1
	s_and_b64 vcc, exec, s[0:1]
	s_cbranch_vccz .LBB11_36
; %bb.31:
	s_and_b64 vcc, exec, s[4:5]
	s_cbranch_vccz .LBB11_33
; %bb.32:
	v_lshl_add_u64 v[10:11], v[4:5], 2, v[8:9]
	global_load_dword v12, v[10:11], off
	v_mul_f32_e32 v13, s18, v0
	s_mov_b64 s[8:9], 0
	s_waitcnt vmcnt(0)
	v_fmac_f32_e32 v13, s28, v12
	global_store_dword v[10:11], v13, off
.LBB11_33:
	s_andn2_b64 vcc, exec, s[8:9]
	s_cbranch_vccnz .LBB11_35
; %bb.34:
	v_mad_u64_u32 v[10:11], s[8:9], s2, v4, 0
	v_mov_b32_e32 v12, v11
	v_mad_u64_u32 v[12:13], s[8:9], s3, v4, v[12:13]
	v_mov_b32_e32 v11, v12
	v_lshl_add_u64 v[10:11], v[10:11], 2, v[6:7]
	global_load_dword v12, v[10:11], off
	v_mul_f32_e32 v13, s18, v0
	s_waitcnt vmcnt(0)
	v_fmac_f32_e32 v13, s28, v12
	global_store_dword v[10:11], v13, off
.LBB11_35:
	s_mov_b64 s[8:9], 0
.LBB11_36:
	s_andn2_b64 vcc, exec, s[8:9]
	s_cbranch_vccnz .LBB11_41
; %bb.37:
	v_mul_f32_e32 v0, s18, v0
	s_mov_b64 s[8:9], -1
	s_and_b64 vcc, exec, s[4:5]
	s_cbranch_vccz .LBB11_39
; %bb.38:
	v_lshl_add_u64 v[10:11], v[4:5], 2, v[8:9]
	global_store_dword v[10:11], v0, off
	s_mov_b64 s[8:9], 0
.LBB11_39:
	s_andn2_b64 vcc, exec, s[8:9]
	s_cbranch_vccnz .LBB11_41
; %bb.40:
	v_mad_u64_u32 v[10:11], s[8:9], s2, v4, 0
	v_mov_b32_e32 v12, v11
	v_mad_u64_u32 v[4:5], s[8:9], s3, v4, v[12:13]
	v_mov_b32_e32 v11, v4
	v_lshl_add_u64 v[4:5], v[10:11], 2, v[6:7]
	global_store_dword v[4:5], v0, off
.LBB11_41:
	s_or_b64 exec, exec, s[6:7]
	v_cmp_gt_i64_e32 vcc, s[14:15], v[2:3]
	s_and_b64 exec, exec, vcc
	s_cbranch_execz .LBB11_48
; %bb.42:
	v_cndmask_b32_e64 v0, 0, 1, s[4:5]
	s_andn2_b64 vcc, exec, s[0:1]
	v_cmp_ne_u32_e64 s[0:1], 1, v0
	s_cbranch_vccnz .LBB11_49
; %bb.43:
	s_and_b64 vcc, exec, s[0:1]
	s_mov_b64 s[4:5], -1
	s_cbranch_vccnz .LBB11_45
; %bb.44:
	v_lshl_add_u64 v[4:5], v[2:3], 2, v[8:9]
	global_load_dword v0, v[4:5], off
	v_mul_f32_e32 v10, s18, v1
	s_mov_b64 s[4:5], 0
	s_waitcnt vmcnt(0)
	v_fmac_f32_e32 v10, s28, v0
	global_store_dword v[4:5], v10, off
.LBB11_45:
	s_andn2_b64 vcc, exec, s[4:5]
	s_cbranch_vccnz .LBB11_47
; %bb.46:
	v_mad_u64_u32 v[4:5], s[4:5], s2, v2, 0
	v_mov_b32_e32 v0, v5
	v_mad_u64_u32 v[10:11], s[4:5], s3, v2, v[0:1]
	v_mov_b32_e32 v5, v10
	v_lshl_add_u64 v[4:5], v[4:5], 2, v[6:7]
	global_load_dword v0, v[4:5], off
	v_mul_f32_e32 v10, s18, v1
	s_waitcnt vmcnt(0)
	v_fmac_f32_e32 v10, s28, v0
	global_store_dword v[4:5], v10, off
.LBB11_47:
	s_cbranch_execz .LBB11_50
.LBB11_48:
	s_endpgm
.LBB11_49:
.LBB11_50:
	v_mul_f32_e32 v0, s18, v1
	s_and_b64 vcc, exec, s[0:1]
	s_mov_b64 s[0:1], -1
	s_cbranch_vccnz .LBB11_52
; %bb.51:
	v_lshl_add_u64 v[4:5], v[2:3], 2, v[8:9]
	s_mov_b64 s[0:1], 0
	global_store_dword v[4:5], v0, off
.LBB11_52:
	s_andn2_b64 vcc, exec, s[0:1]
	s_cbranch_vccnz .LBB11_48
; %bb.53:
	v_mad_u64_u32 v[4:5], s[0:1], s2, v2, 0
	v_mov_b32_e32 v8, v5
	v_mad_u64_u32 v[2:3], s[0:1], s3, v2, v[8:9]
	v_mov_b32_e32 v5, v2
	v_lshl_add_u64 v[2:3], v[4:5], 2, v[6:7]
	global_store_dword v[2:3], v0, off
	s_endpgm
	.section	.rodata,"a",@progbits
	.p2align	6, 0x0
	.amdhsa_kernel _ZN9rocsparseL31bsrmm_large_blockdim_kernel_extILj32ELj32ELj2EllffffEEvb20rocsparse_direction_T3_S2_llNS_24const_host_device_scalarIT7_EEPKT2_PKS2_PKT4_S2_PKT5_llS5_PT6_ll16rocsparse_order_21rocsparse_index_base_b
		.amdhsa_group_segment_fixed_size 12288
		.amdhsa_private_segment_fixed_size 0
		.amdhsa_kernarg_size 148
		.amdhsa_user_sgpr_count 2
		.amdhsa_user_sgpr_dispatch_ptr 0
		.amdhsa_user_sgpr_queue_ptr 0
		.amdhsa_user_sgpr_kernarg_segment_ptr 1
		.amdhsa_user_sgpr_dispatch_id 0
		.amdhsa_user_sgpr_kernarg_preload_length 0
		.amdhsa_user_sgpr_kernarg_preload_offset 0
		.amdhsa_user_sgpr_private_segment_size 0
		.amdhsa_uses_dynamic_stack 0
		.amdhsa_enable_private_segment 0
		.amdhsa_system_sgpr_workgroup_id_x 1
		.amdhsa_system_sgpr_workgroup_id_y 1
		.amdhsa_system_sgpr_workgroup_id_z 0
		.amdhsa_system_sgpr_workgroup_info 0
		.amdhsa_system_vgpr_workitem_id 1
		.amdhsa_next_free_vgpr 32
		.amdhsa_next_free_sgpr 48
		.amdhsa_accum_offset 32
		.amdhsa_reserve_vcc 1
		.amdhsa_float_round_mode_32 0
		.amdhsa_float_round_mode_16_64 0
		.amdhsa_float_denorm_mode_32 3
		.amdhsa_float_denorm_mode_16_64 3
		.amdhsa_dx10_clamp 1
		.amdhsa_ieee_mode 1
		.amdhsa_fp16_overflow 0
		.amdhsa_tg_split 0
		.amdhsa_exception_fp_ieee_invalid_op 0
		.amdhsa_exception_fp_denorm_src 0
		.amdhsa_exception_fp_ieee_div_zero 0
		.amdhsa_exception_fp_ieee_overflow 0
		.amdhsa_exception_fp_ieee_underflow 0
		.amdhsa_exception_fp_ieee_inexact 0
		.amdhsa_exception_int_div_zero 0
	.end_amdhsa_kernel
	.section	.text._ZN9rocsparseL31bsrmm_large_blockdim_kernel_extILj32ELj32ELj2EllffffEEvb20rocsparse_direction_T3_S2_llNS_24const_host_device_scalarIT7_EEPKT2_PKS2_PKT4_S2_PKT5_llS5_PT6_ll16rocsparse_order_21rocsparse_index_base_b,"axG",@progbits,_ZN9rocsparseL31bsrmm_large_blockdim_kernel_extILj32ELj32ELj2EllffffEEvb20rocsparse_direction_T3_S2_llNS_24const_host_device_scalarIT7_EEPKT2_PKS2_PKT4_S2_PKT5_llS5_PT6_ll16rocsparse_order_21rocsparse_index_base_b,comdat
.Lfunc_end11:
	.size	_ZN9rocsparseL31bsrmm_large_blockdim_kernel_extILj32ELj32ELj2EllffffEEvb20rocsparse_direction_T3_S2_llNS_24const_host_device_scalarIT7_EEPKT2_PKS2_PKT4_S2_PKT5_llS5_PT6_ll16rocsparse_order_21rocsparse_index_base_b, .Lfunc_end11-_ZN9rocsparseL31bsrmm_large_blockdim_kernel_extILj32ELj32ELj2EllffffEEvb20rocsparse_direction_T3_S2_llNS_24const_host_device_scalarIT7_EEPKT2_PKS2_PKT4_S2_PKT5_llS5_PT6_ll16rocsparse_order_21rocsparse_index_base_b
                                        ; -- End function
	.set _ZN9rocsparseL31bsrmm_large_blockdim_kernel_extILj32ELj32ELj2EllffffEEvb20rocsparse_direction_T3_S2_llNS_24const_host_device_scalarIT7_EEPKT2_PKS2_PKT4_S2_PKT5_llS5_PT6_ll16rocsparse_order_21rocsparse_index_base_b.num_vgpr, 32
	.set _ZN9rocsparseL31bsrmm_large_blockdim_kernel_extILj32ELj32ELj2EllffffEEvb20rocsparse_direction_T3_S2_llNS_24const_host_device_scalarIT7_EEPKT2_PKS2_PKT4_S2_PKT5_llS5_PT6_ll16rocsparse_order_21rocsparse_index_base_b.num_agpr, 0
	.set _ZN9rocsparseL31bsrmm_large_blockdim_kernel_extILj32ELj32ELj2EllffffEEvb20rocsparse_direction_T3_S2_llNS_24const_host_device_scalarIT7_EEPKT2_PKS2_PKT4_S2_PKT5_llS5_PT6_ll16rocsparse_order_21rocsparse_index_base_b.numbered_sgpr, 48
	.set _ZN9rocsparseL31bsrmm_large_blockdim_kernel_extILj32ELj32ELj2EllffffEEvb20rocsparse_direction_T3_S2_llNS_24const_host_device_scalarIT7_EEPKT2_PKS2_PKT4_S2_PKT5_llS5_PT6_ll16rocsparse_order_21rocsparse_index_base_b.num_named_barrier, 0
	.set _ZN9rocsparseL31bsrmm_large_blockdim_kernel_extILj32ELj32ELj2EllffffEEvb20rocsparse_direction_T3_S2_llNS_24const_host_device_scalarIT7_EEPKT2_PKS2_PKT4_S2_PKT5_llS5_PT6_ll16rocsparse_order_21rocsparse_index_base_b.private_seg_size, 0
	.set _ZN9rocsparseL31bsrmm_large_blockdim_kernel_extILj32ELj32ELj2EllffffEEvb20rocsparse_direction_T3_S2_llNS_24const_host_device_scalarIT7_EEPKT2_PKS2_PKT4_S2_PKT5_llS5_PT6_ll16rocsparse_order_21rocsparse_index_base_b.uses_vcc, 1
	.set _ZN9rocsparseL31bsrmm_large_blockdim_kernel_extILj32ELj32ELj2EllffffEEvb20rocsparse_direction_T3_S2_llNS_24const_host_device_scalarIT7_EEPKT2_PKS2_PKT4_S2_PKT5_llS5_PT6_ll16rocsparse_order_21rocsparse_index_base_b.uses_flat_scratch, 0
	.set _ZN9rocsparseL31bsrmm_large_blockdim_kernel_extILj32ELj32ELj2EllffffEEvb20rocsparse_direction_T3_S2_llNS_24const_host_device_scalarIT7_EEPKT2_PKS2_PKT4_S2_PKT5_llS5_PT6_ll16rocsparse_order_21rocsparse_index_base_b.has_dyn_sized_stack, 0
	.set _ZN9rocsparseL31bsrmm_large_blockdim_kernel_extILj32ELj32ELj2EllffffEEvb20rocsparse_direction_T3_S2_llNS_24const_host_device_scalarIT7_EEPKT2_PKS2_PKT4_S2_PKT5_llS5_PT6_ll16rocsparse_order_21rocsparse_index_base_b.has_recursion, 0
	.set _ZN9rocsparseL31bsrmm_large_blockdim_kernel_extILj32ELj32ELj2EllffffEEvb20rocsparse_direction_T3_S2_llNS_24const_host_device_scalarIT7_EEPKT2_PKS2_PKT4_S2_PKT5_llS5_PT6_ll16rocsparse_order_21rocsparse_index_base_b.has_indirect_call, 0
	.section	.AMDGPU.csdata,"",@progbits
; Kernel info:
; codeLenInByte = 1772
; TotalNumSgprs: 54
; NumVgprs: 32
; NumAgprs: 0
; TotalNumVgprs: 32
; ScratchSize: 0
; MemoryBound: 0
; FloatMode: 240
; IeeeMode: 1
; LDSByteSize: 12288 bytes/workgroup (compile time only)
; SGPRBlocks: 6
; VGPRBlocks: 3
; NumSGPRsForWavesPerEU: 54
; NumVGPRsForWavesPerEU: 32
; AccumOffset: 32
; Occupancy: 8
; WaveLimiterHint : 1
; COMPUTE_PGM_RSRC2:SCRATCH_EN: 0
; COMPUTE_PGM_RSRC2:USER_SGPR: 2
; COMPUTE_PGM_RSRC2:TRAP_HANDLER: 0
; COMPUTE_PGM_RSRC2:TGID_X_EN: 1
; COMPUTE_PGM_RSRC2:TGID_Y_EN: 1
; COMPUTE_PGM_RSRC2:TGID_Z_EN: 0
; COMPUTE_PGM_RSRC2:TIDIG_COMP_CNT: 1
; COMPUTE_PGM_RSRC3_GFX90A:ACCUM_OFFSET: 7
; COMPUTE_PGM_RSRC3_GFX90A:TG_SPLIT: 0
	.section	.text._ZN9rocsparseL31bsrmm_large_blockdim_kernel_extILj8ELj8ELj2EiiddddEEvb20rocsparse_direction_T3_S2_llNS_24const_host_device_scalarIT7_EEPKT2_PKS2_PKT4_S2_PKT5_llS5_PT6_ll16rocsparse_order_21rocsparse_index_base_b,"axG",@progbits,_ZN9rocsparseL31bsrmm_large_blockdim_kernel_extILj8ELj8ELj2EiiddddEEvb20rocsparse_direction_T3_S2_llNS_24const_host_device_scalarIT7_EEPKT2_PKS2_PKT4_S2_PKT5_llS5_PT6_ll16rocsparse_order_21rocsparse_index_base_b,comdat
	.globl	_ZN9rocsparseL31bsrmm_large_blockdim_kernel_extILj8ELj8ELj2EiiddddEEvb20rocsparse_direction_T3_S2_llNS_24const_host_device_scalarIT7_EEPKT2_PKS2_PKT4_S2_PKT5_llS5_PT6_ll16rocsparse_order_21rocsparse_index_base_b ; -- Begin function _ZN9rocsparseL31bsrmm_large_blockdim_kernel_extILj8ELj8ELj2EiiddddEEvb20rocsparse_direction_T3_S2_llNS_24const_host_device_scalarIT7_EEPKT2_PKS2_PKT4_S2_PKT5_llS5_PT6_ll16rocsparse_order_21rocsparse_index_base_b
	.p2align	8
	.type	_ZN9rocsparseL31bsrmm_large_blockdim_kernel_extILj8ELj8ELj2EiiddddEEvb20rocsparse_direction_T3_S2_llNS_24const_host_device_scalarIT7_EEPKT2_PKS2_PKT4_S2_PKT5_llS5_PT6_ll16rocsparse_order_21rocsparse_index_base_b,@function
_ZN9rocsparseL31bsrmm_large_blockdim_kernel_extILj8ELj8ELj2EiiddddEEvb20rocsparse_direction_T3_S2_llNS_24const_host_device_scalarIT7_EEPKT2_PKS2_PKT4_S2_PKT5_llS5_PT6_ll16rocsparse_order_21rocsparse_index_base_b: ; @_ZN9rocsparseL31bsrmm_large_blockdim_kernel_extILj8ELj8ELj2EiiddddEEvb20rocsparse_direction_T3_S2_llNS_24const_host_device_scalarIT7_EEPKT2_PKS2_PKT4_S2_PKT5_llS5_PT6_ll16rocsparse_order_21rocsparse_index_base_b
; %bb.0:
	s_load_dwordx4 s[16:19], s[0:1], 0x80
	s_load_dwordx2 s[10:11], s[0:1], 0x20
	s_load_dwordx2 s[6:7], s[0:1], 0x60
	s_mov_b32 s4, s3
	s_waitcnt lgkmcnt(0)
	s_bitcmp1_b32 s18, 0
	s_cselect_b64 s[12:13], -1, 0
	s_xor_b64 s[8:9], s[12:13], -1
	s_and_b64 vcc, exec, s[12:13]
	v_mov_b64_e32 v[4:5], s[10:11]
	s_cbranch_vccnz .LBB12_2
; %bb.1:
	v_mov_b64_e32 v[2:3], s[10:11]
	flat_load_dwordx2 v[4:5], v[2:3]
.LBB12_2:
	s_andn2_b64 vcc, exec, s[8:9]
	v_mov_b64_e32 v[6:7], s[6:7]
	s_cbranch_vccnz .LBB12_4
; %bb.3:
	v_mov_b64_e32 v[2:3], s[6:7]
	flat_load_dwordx2 v[6:7], v[2:3]
.LBB12_4:
	s_waitcnt vmcnt(0) lgkmcnt(0)
	v_cmp_neq_f64_e32 vcc, 0, v[4:5]
	v_cmp_neq_f64_e64 s[6:7], 1.0, v[6:7]
	s_or_b64 s[6:7], vcc, s[6:7]
	s_and_saveexec_b64 s[8:9], s[6:7]
	s_cbranch_execz .LBB12_51
; %bb.5:
	s_load_dwordx4 s[12:15], s[0:1], 0x0
	s_load_dwordx2 s[6:7], s[0:1], 0x28
	s_mov_b32 s33, 0
	s_mov_b32 s30, 0
	s_waitcnt lgkmcnt(0)
	s_cmp_lt_i32 s2, s14
	s_cselect_b64 s[18:19], -1, 0
	s_cmp_ge_i32 s2, s14
	s_cbranch_scc1 .LBB12_7
; %bb.6:
	s_ashr_i32 s3, s2, 31
	s_lshl_b64 s[8:9], s[2:3], 2
	s_add_u32 s8, s6, s8
	s_addc_u32 s9, s7, s9
	s_load_dword s3, s[8:9], 0x0
	s_waitcnt lgkmcnt(0)
	s_sub_i32 s30, s3, s17
.LBB12_7:
	s_andn2_b64 vcc, exec, s[18:19]
	s_cbranch_vccnz .LBB12_9
; %bb.8:
	s_ashr_i32 s3, s2, 31
	s_lshl_b64 s[8:9], s[2:3], 2
	s_add_u32 s6, s6, s8
	s_addc_u32 s7, s7, s9
	s_load_dword s3, s[6:7], 0x4
	s_waitcnt lgkmcnt(0)
	s_sub_i32 s33, s3, s17
.LBB12_9:
	s_load_dwordx2 s[28:29], s[0:1], 0x68
	s_load_dword s3, s[0:1], 0x40
	v_bfe_u32 v2, v0, 10, 10
	v_lshl_add_u32 v10, s4, 4, v2
	v_add_u32_e32 v8, 8, v10
	v_and_b32_e32 v12, 0x3ff, v0
	s_waitcnt lgkmcnt(0)
	v_cmp_gt_i32_e32 vcc, s3, v12
	s_cmp_ge_i32 s30, s33
	v_cmp_gt_i32_e64 s[4:5], s15, v10
	v_cmp_gt_i32_e64 s[6:7], s15, v8
	s_cbranch_scc1 .LBB12_27
; %bb.10:
	s_load_dwordx4 s[20:23], s[0:1], 0x30
	s_load_dwordx4 s[24:27], s[0:1], 0x48
	v_cmp_gt_i32_e64 s[8:9], s3, v2
	s_and_b64 s[34:35], vcc, s[8:9]
	s_bitcmp1_b32 s12, 0
	v_mov_b32_e32 v0, 0x400
	v_lshlrev_b32_e32 v13, 6, v2
	s_cselect_b64 s[8:9], -1, 0
	v_lshl_add_u32 v18, v2, 3, v0
	s_cmp_eq_u32 s13, 0
	v_mad_u64_u32 v[0:1], s[10:11], s3, v2, v[12:13]
	v_mad_u64_u32 v[2:3], s[10:11], s3, v12, v[2:3]
	v_ashrrev_i32_e32 v11, 31, v10
	s_waitcnt lgkmcnt(0)
	v_mad_u64_u32 v[14:15], s[10:11], s26, v10, 0
	v_mad_u64_u32 v[16:17], s[10:11], s26, v8, 0
	v_mul_lo_u32 v1, s27, v10
	v_mul_lo_u32 v3, s26, v11
	v_ashrrev_i32_e32 v9, 31, v8
	s_cselect_b64 s[10:11], -1, 0
	v_lshlrev_b32_e32 v19, 3, v12
	v_lshlrev_b32_e32 v20, 6, v12
	v_add3_u32 v15, v15, v3, v1
	v_mul_lo_u32 v1, s27, v8
	v_mul_lo_u32 v3, s26, v9
	v_cndmask_b32_e64 v22, v0, v2, s[10:11]
	v_mov_b32_e32 v0, 0
	s_mul_i32 s14, s3, s3
	v_add3_u32 v17, v17, v3, v1
	v_add_u32_e32 v23, 0x400, v20
	v_add_u32_e32 v24, 0x200, v13
	v_mov_b32_e32 v1, v0
	v_mov_b32_e32 v2, v0
	;; [unrolled: 1-line block ×3, first 2 shown]
	v_add_u32_e32 v25, v18, v20
	v_add_u32_e32 v26, v19, v13
	s_branch .LBB12_13
.LBB12_11:                              ;   in Loop: Header=BB12_13 Depth=1
	s_or_b64 exec, exec, s[12:13]
.LBB12_12:                              ;   in Loop: Header=BB12_13 Depth=1
	s_or_b64 exec, exec, s[10:11]
	s_add_i32 s30, s30, 1
	s_cmp_ge_i32 s30, s33
	; wave barrier
	s_cbranch_scc1 .LBB12_28
.LBB12_13:                              ; =>This Loop Header: Depth=1
                                        ;     Child Loop BB12_23 Depth 2
                                        ;     Child Loop BB12_26 Depth 2
	s_and_saveexec_b64 s[10:11], vcc
	s_cbranch_execz .LBB12_18
; %bb.14:                               ;   in Loop: Header=BB12_13 Depth=1
	s_ashr_i32 s31, s30, 31
	s_lshl_b64 s[12:13], s[30:31], 2
	s_add_u32 s12, s20, s12
	s_addc_u32 s13, s21, s13
	s_load_dword s12, s[12:13], 0x0
	s_waitcnt lgkmcnt(0)
	s_sub_i32 s12, s12, s17
	s_mul_i32 s12, s12, s3
	v_add_u32_e32 v20, s12, v12
	v_ashrrev_i32_e32 v21, 31, v20
	v_mul_lo_u32 v27, s27, v20
	v_mad_u64_u32 v[18:19], s[12:13], s26, v20, 0
	v_mul_lo_u32 v28, s26, v21
	v_add3_u32 v19, v19, v28, v27
	v_lshl_add_u64 v[18:19], v[18:19], 3, s[24:25]
	v_lshl_add_u64 v[20:21], v[20:21], 3, s[24:25]
	s_and_saveexec_b64 s[12:13], s[4:5]
	s_cbranch_execz .LBB12_16
; %bb.15:                               ;   in Loop: Header=BB12_13 Depth=1
	v_lshl_add_u64 v[28:29], v[10:11], 3, v[18:19]
	v_lshl_add_u64 v[30:31], v[14:15], 3, v[20:21]
	v_cndmask_b32_e64 v29, v29, v31, s[8:9]
	v_cndmask_b32_e64 v28, v28, v30, s[8:9]
	global_load_dwordx2 v[28:29], v[28:29], off
	s_waitcnt vmcnt(0)
	ds_write_b64 v26, v[28:29]
.LBB12_16:                              ;   in Loop: Header=BB12_13 Depth=1
	s_or_b64 exec, exec, s[12:13]
	s_and_b64 exec, exec, s[6:7]
	s_cbranch_execz .LBB12_18
; %bb.17:                               ;   in Loop: Header=BB12_13 Depth=1
	v_lshl_add_u64 v[20:21], v[16:17], 3, v[20:21]
	v_lshl_add_u64 v[18:19], v[8:9], 3, v[18:19]
	v_cndmask_b32_e64 v19, v19, v21, s[8:9]
	v_cndmask_b32_e64 v18, v18, v20, s[8:9]
	global_load_dwordx2 v[18:19], v[18:19], off
	s_waitcnt vmcnt(0)
	ds_write_b64 v26, v[18:19] offset:512
.LBB12_18:                              ;   in Loop: Header=BB12_13 Depth=1
	s_or_b64 exec, exec, s[10:11]
	s_and_saveexec_b64 s[10:11], s[34:35]
	s_cbranch_execz .LBB12_20
; %bb.19:                               ;   in Loop: Header=BB12_13 Depth=1
	s_mul_i32 s12, s14, s30
	v_add_u32_e32 v18, s12, v22
	v_ashrrev_i32_e32 v19, 31, v18
	v_lshl_add_u64 v[18:19], v[18:19], 3, s[22:23]
	global_load_dwordx2 v[18:19], v[18:19], off
	s_waitcnt vmcnt(0)
	ds_write_b64 v25, v[18:19]
.LBB12_20:                              ;   in Loop: Header=BB12_13 Depth=1
	s_or_b64 exec, exec, s[10:11]
	s_waitcnt lgkmcnt(0)
	; wave barrier
	s_and_saveexec_b64 s[10:11], vcc
	s_cbranch_execz .LBB12_12
; %bb.21:                               ;   in Loop: Header=BB12_13 Depth=1
	s_and_saveexec_b64 s[12:13], s[4:5]
	s_cbranch_execz .LBB12_24
; %bb.22:                               ;   in Loop: Header=BB12_13 Depth=1
	v_mov_b32_e32 v18, v23
	v_mov_b32_e32 v19, v13
	s_mov_b32 s31, s3
.LBB12_23:                              ;   Parent Loop BB12_13 Depth=1
                                        ; =>  This Inner Loop Header: Depth=2
	ds_read_b64 v[20:21], v18
	ds_read_b64 v[28:29], v19
	s_add_i32 s31, s31, -1
	v_add_u32_e32 v19, 8, v19
	v_add_u32_e32 v18, 8, v18
	s_cmp_lg_u32 s31, 0
	s_waitcnt lgkmcnt(0)
	v_fmac_f64_e32 v[0:1], v[20:21], v[28:29]
	s_cbranch_scc1 .LBB12_23
.LBB12_24:                              ;   in Loop: Header=BB12_13 Depth=1
	s_or_b64 exec, exec, s[12:13]
	s_and_saveexec_b64 s[12:13], s[6:7]
	s_cbranch_execz .LBB12_11
; %bb.25:                               ;   in Loop: Header=BB12_13 Depth=1
	v_mov_b32_e32 v18, v23
	s_mov_b32 s31, s3
	v_mov_b32_e32 v19, v24
.LBB12_26:                              ;   Parent Loop BB12_13 Depth=1
                                        ; =>  This Inner Loop Header: Depth=2
	ds_read_b64 v[20:21], v18
	ds_read_b64 v[28:29], v19
	s_add_i32 s31, s31, -1
	v_add_u32_e32 v19, 8, v19
	v_add_u32_e32 v18, 8, v18
	s_cmp_lg_u32 s31, 0
	s_waitcnt lgkmcnt(0)
	v_fmac_f64_e32 v[2:3], v[20:21], v[28:29]
	s_cbranch_scc1 .LBB12_26
	s_branch .LBB12_11
.LBB12_27:
	v_mov_b32_e32 v0, 0
	v_mov_b32_e32 v1, v0
	;; [unrolled: 1-line block ×4, first 2 shown]
.LBB12_28:
	s_and_b64 s[4:5], s[18:19], vcc
	s_and_b64 exec, exec, s[4:5]
	s_cbranch_execz .LBB12_51
; %bb.29:
	s_load_dwordx2 s[4:5], s[0:1], 0x70
	s_mul_i32 s2, s3, s2
	v_add_u32_e32 v12, s2, v12
	v_ashrrev_i32_e32 v13, 31, v12
	s_cmp_lg_u32 s16, 1
	s_waitcnt lgkmcnt(0)
	v_mul_lo_u32 v9, s4, v13
	v_mul_lo_u32 v11, s5, v12
	v_mad_u64_u32 v[14:15], s[6:7], s4, v12, 0
	v_add3_u32 v15, v15, v9, v11
	v_cmp_neq_f64_e64 s[0:1], 0, v[6:7]
	s_cselect_b64 s[2:3], -1, 0
	v_lshl_add_u64 v[14:15], v[14:15], 3, s[28:29]
	v_lshl_add_u64 v[12:13], v[12:13], 3, s[28:29]
	v_cmp_gt_i32_e32 vcc, s15, v10
	s_and_saveexec_b64 s[6:7], vcc
	s_cbranch_execz .LBB12_40
; %bb.30:
	v_ashrrev_i32_e32 v11, 31, v10
	s_and_saveexec_b64 s[8:9], s[0:1]
	s_xor_b64 s[8:9], exec, s[8:9]
	s_cbranch_execz .LBB12_35
; %bb.31:
	s_mov_b64 s[10:11], -1
	s_and_b64 vcc, exec, s[2:3]
	s_cbranch_vccz .LBB12_33
; %bb.32:
	v_lshl_add_u64 v[16:17], v[10:11], 3, v[14:15]
	global_load_dwordx2 v[18:19], v[16:17], off
	v_mul_f64 v[20:21], v[4:5], v[0:1]
	s_mov_b64 s[10:11], 0
	s_waitcnt vmcnt(0)
	v_fmac_f64_e32 v[20:21], v[6:7], v[18:19]
	global_store_dwordx2 v[16:17], v[20:21], off
.LBB12_33:
	s_andn2_b64 vcc, exec, s[10:11]
	s_cbranch_vccnz .LBB12_35
; %bb.34:
	v_mul_lo_u32 v9, s5, v10
	v_mul_lo_u32 v16, s4, v11
	v_mad_u64_u32 v[10:11], s[10:11], s4, v10, 0
	v_add3_u32 v11, v11, v16, v9
	v_lshl_add_u64 v[10:11], v[10:11], 3, v[12:13]
	global_load_dwordx2 v[16:17], v[10:11], off
	v_mul_f64 v[18:19], v[4:5], v[0:1]
	s_waitcnt vmcnt(0)
	v_fmac_f64_e32 v[18:19], v[6:7], v[16:17]
	global_store_dwordx2 v[10:11], v[18:19], off
                                        ; implicit-def: $vgpr10
.LBB12_35:
	s_andn2_saveexec_b64 s[8:9], s[8:9]
	s_cbranch_execz .LBB12_40
; %bb.36:
	v_mul_f64 v[0:1], v[4:5], v[0:1]
	s_mov_b64 s[8:9], -1
	s_and_b64 vcc, exec, s[2:3]
	s_cbranch_vccz .LBB12_38
; %bb.37:
	v_lshl_add_u64 v[16:17], v[10:11], 3, v[14:15]
	global_store_dwordx2 v[16:17], v[0:1], off
	s_mov_b64 s[8:9], 0
.LBB12_38:
	s_andn2_b64 vcc, exec, s[8:9]
	s_cbranch_vccnz .LBB12_40
; %bb.39:
	v_mul_lo_u32 v9, s5, v10
	v_mul_lo_u32 v16, s4, v11
	v_mad_u64_u32 v[10:11], s[8:9], s4, v10, 0
	v_add3_u32 v11, v11, v16, v9
	v_lshl_add_u64 v[10:11], v[10:11], 3, v[12:13]
	global_store_dwordx2 v[10:11], v[0:1], off
.LBB12_40:
	s_or_b64 exec, exec, s[6:7]
	v_cmp_gt_i32_e32 vcc, s15, v8
	s_and_b64 exec, exec, vcc
	s_cbranch_execz .LBB12_51
; %bb.41:
	v_cndmask_b32_e64 v0, 0, 1, s[2:3]
	v_ashrrev_i32_e32 v9, 31, v8
	v_cmp_ne_u32_e64 s[2:3], 1, v0
	s_and_saveexec_b64 s[6:7], s[0:1]
	s_xor_b64 s[0:1], exec, s[6:7]
	s_cbranch_execz .LBB12_46
; %bb.42:
	s_and_b64 vcc, exec, s[2:3]
	s_mov_b64 s[6:7], -1
	s_cbranch_vccnz .LBB12_44
; %bb.43:
	v_lshl_add_u64 v[0:1], v[8:9], 3, v[14:15]
	global_load_dwordx2 v[10:11], v[0:1], off
	v_mul_f64 v[14:15], v[4:5], v[2:3]
	s_mov_b64 s[6:7], 0
	s_waitcnt vmcnt(0)
	v_fmac_f64_e32 v[14:15], v[6:7], v[10:11]
	global_store_dwordx2 v[0:1], v[14:15], off
.LBB12_44:
	s_andn2_b64 vcc, exec, s[6:7]
                                        ; implicit-def: $vgpr14_vgpr15
	s_cbranch_vccnz .LBB12_46
; %bb.45:
	v_mul_lo_u32 v10, s5, v8
	v_mul_lo_u32 v9, s4, v9
	v_mad_u64_u32 v[0:1], s[6:7], s4, v8, 0
	v_add3_u32 v1, v1, v9, v10
	v_lshl_add_u64 v[0:1], v[0:1], 3, v[12:13]
	global_load_dwordx2 v[8:9], v[0:1], off
	v_mul_f64 v[2:3], v[4:5], v[2:3]
                                        ; implicit-def: $vgpr12_vgpr13
                                        ; implicit-def: $vgpr4_vgpr5
                                        ; implicit-def: $vgpr14_vgpr15
	s_waitcnt vmcnt(0)
	v_fmac_f64_e32 v[2:3], v[6:7], v[8:9]
	global_store_dwordx2 v[0:1], v[2:3], off
                                        ; implicit-def: $vgpr0_vgpr1_vgpr2_vgpr3
                                        ; implicit-def: $vgpr8
.LBB12_46:
	s_andn2_saveexec_b64 s[0:1], s[0:1]
	s_cbranch_execz .LBB12_51
; %bb.47:
	v_mul_f64 v[0:1], v[4:5], v[2:3]
	s_and_b64 vcc, exec, s[2:3]
	s_mov_b64 s[0:1], -1
	s_cbranch_vccnz .LBB12_49
; %bb.48:
	v_lshl_add_u64 v[2:3], v[8:9], 3, v[14:15]
	s_mov_b64 s[0:1], 0
	global_store_dwordx2 v[2:3], v[0:1], off
.LBB12_49:
	s_andn2_b64 vcc, exec, s[0:1]
	s_cbranch_vccnz .LBB12_51
; %bb.50:
	v_mul_lo_u32 v4, s5, v8
	v_mul_lo_u32 v5, s4, v9
	v_mad_u64_u32 v[2:3], s[0:1], s4, v8, 0
	v_add3_u32 v3, v3, v5, v4
	v_lshl_add_u64 v[2:3], v[2:3], 3, v[12:13]
	global_store_dwordx2 v[2:3], v[0:1], off
.LBB12_51:
	s_endpgm
	.section	.rodata,"a",@progbits
	.p2align	6, 0x0
	.amdhsa_kernel _ZN9rocsparseL31bsrmm_large_blockdim_kernel_extILj8ELj8ELj2EiiddddEEvb20rocsparse_direction_T3_S2_llNS_24const_host_device_scalarIT7_EEPKT2_PKS2_PKT4_S2_PKT5_llS5_PT6_ll16rocsparse_order_21rocsparse_index_base_b
		.amdhsa_group_segment_fixed_size 1536
		.amdhsa_private_segment_fixed_size 0
		.amdhsa_kernarg_size 140
		.amdhsa_user_sgpr_count 2
		.amdhsa_user_sgpr_dispatch_ptr 0
		.amdhsa_user_sgpr_queue_ptr 0
		.amdhsa_user_sgpr_kernarg_segment_ptr 1
		.amdhsa_user_sgpr_dispatch_id 0
		.amdhsa_user_sgpr_kernarg_preload_length 0
		.amdhsa_user_sgpr_kernarg_preload_offset 0
		.amdhsa_user_sgpr_private_segment_size 0
		.amdhsa_uses_dynamic_stack 0
		.amdhsa_enable_private_segment 0
		.amdhsa_system_sgpr_workgroup_id_x 1
		.amdhsa_system_sgpr_workgroup_id_y 1
		.amdhsa_system_sgpr_workgroup_id_z 0
		.amdhsa_system_sgpr_workgroup_info 0
		.amdhsa_system_vgpr_workitem_id 1
		.amdhsa_next_free_vgpr 32
		.amdhsa_next_free_sgpr 36
		.amdhsa_accum_offset 32
		.amdhsa_reserve_vcc 1
		.amdhsa_float_round_mode_32 0
		.amdhsa_float_round_mode_16_64 0
		.amdhsa_float_denorm_mode_32 3
		.amdhsa_float_denorm_mode_16_64 3
		.amdhsa_dx10_clamp 1
		.amdhsa_ieee_mode 1
		.amdhsa_fp16_overflow 0
		.amdhsa_tg_split 0
		.amdhsa_exception_fp_ieee_invalid_op 0
		.amdhsa_exception_fp_denorm_src 0
		.amdhsa_exception_fp_ieee_div_zero 0
		.amdhsa_exception_fp_ieee_overflow 0
		.amdhsa_exception_fp_ieee_underflow 0
		.amdhsa_exception_fp_ieee_inexact 0
		.amdhsa_exception_int_div_zero 0
	.end_amdhsa_kernel
	.section	.text._ZN9rocsparseL31bsrmm_large_blockdim_kernel_extILj8ELj8ELj2EiiddddEEvb20rocsparse_direction_T3_S2_llNS_24const_host_device_scalarIT7_EEPKT2_PKS2_PKT4_S2_PKT5_llS5_PT6_ll16rocsparse_order_21rocsparse_index_base_b,"axG",@progbits,_ZN9rocsparseL31bsrmm_large_blockdim_kernel_extILj8ELj8ELj2EiiddddEEvb20rocsparse_direction_T3_S2_llNS_24const_host_device_scalarIT7_EEPKT2_PKS2_PKT4_S2_PKT5_llS5_PT6_ll16rocsparse_order_21rocsparse_index_base_b,comdat
.Lfunc_end12:
	.size	_ZN9rocsparseL31bsrmm_large_blockdim_kernel_extILj8ELj8ELj2EiiddddEEvb20rocsparse_direction_T3_S2_llNS_24const_host_device_scalarIT7_EEPKT2_PKS2_PKT4_S2_PKT5_llS5_PT6_ll16rocsparse_order_21rocsparse_index_base_b, .Lfunc_end12-_ZN9rocsparseL31bsrmm_large_blockdim_kernel_extILj8ELj8ELj2EiiddddEEvb20rocsparse_direction_T3_S2_llNS_24const_host_device_scalarIT7_EEPKT2_PKS2_PKT4_S2_PKT5_llS5_PT6_ll16rocsparse_order_21rocsparse_index_base_b
                                        ; -- End function
	.set _ZN9rocsparseL31bsrmm_large_blockdim_kernel_extILj8ELj8ELj2EiiddddEEvb20rocsparse_direction_T3_S2_llNS_24const_host_device_scalarIT7_EEPKT2_PKS2_PKT4_S2_PKT5_llS5_PT6_ll16rocsparse_order_21rocsparse_index_base_b.num_vgpr, 32
	.set _ZN9rocsparseL31bsrmm_large_blockdim_kernel_extILj8ELj8ELj2EiiddddEEvb20rocsparse_direction_T3_S2_llNS_24const_host_device_scalarIT7_EEPKT2_PKS2_PKT4_S2_PKT5_llS5_PT6_ll16rocsparse_order_21rocsparse_index_base_b.num_agpr, 0
	.set _ZN9rocsparseL31bsrmm_large_blockdim_kernel_extILj8ELj8ELj2EiiddddEEvb20rocsparse_direction_T3_S2_llNS_24const_host_device_scalarIT7_EEPKT2_PKS2_PKT4_S2_PKT5_llS5_PT6_ll16rocsparse_order_21rocsparse_index_base_b.numbered_sgpr, 36
	.set _ZN9rocsparseL31bsrmm_large_blockdim_kernel_extILj8ELj8ELj2EiiddddEEvb20rocsparse_direction_T3_S2_llNS_24const_host_device_scalarIT7_EEPKT2_PKS2_PKT4_S2_PKT5_llS5_PT6_ll16rocsparse_order_21rocsparse_index_base_b.num_named_barrier, 0
	.set _ZN9rocsparseL31bsrmm_large_blockdim_kernel_extILj8ELj8ELj2EiiddddEEvb20rocsparse_direction_T3_S2_llNS_24const_host_device_scalarIT7_EEPKT2_PKS2_PKT4_S2_PKT5_llS5_PT6_ll16rocsparse_order_21rocsparse_index_base_b.private_seg_size, 0
	.set _ZN9rocsparseL31bsrmm_large_blockdim_kernel_extILj8ELj8ELj2EiiddddEEvb20rocsparse_direction_T3_S2_llNS_24const_host_device_scalarIT7_EEPKT2_PKS2_PKT4_S2_PKT5_llS5_PT6_ll16rocsparse_order_21rocsparse_index_base_b.uses_vcc, 1
	.set _ZN9rocsparseL31bsrmm_large_blockdim_kernel_extILj8ELj8ELj2EiiddddEEvb20rocsparse_direction_T3_S2_llNS_24const_host_device_scalarIT7_EEPKT2_PKS2_PKT4_S2_PKT5_llS5_PT6_ll16rocsparse_order_21rocsparse_index_base_b.uses_flat_scratch, 0
	.set _ZN9rocsparseL31bsrmm_large_blockdim_kernel_extILj8ELj8ELj2EiiddddEEvb20rocsparse_direction_T3_S2_llNS_24const_host_device_scalarIT7_EEPKT2_PKS2_PKT4_S2_PKT5_llS5_PT6_ll16rocsparse_order_21rocsparse_index_base_b.has_dyn_sized_stack, 0
	.set _ZN9rocsparseL31bsrmm_large_blockdim_kernel_extILj8ELj8ELj2EiiddddEEvb20rocsparse_direction_T3_S2_llNS_24const_host_device_scalarIT7_EEPKT2_PKS2_PKT4_S2_PKT5_llS5_PT6_ll16rocsparse_order_21rocsparse_index_base_b.has_recursion, 0
	.set _ZN9rocsparseL31bsrmm_large_blockdim_kernel_extILj8ELj8ELj2EiiddddEEvb20rocsparse_direction_T3_S2_llNS_24const_host_device_scalarIT7_EEPKT2_PKS2_PKT4_S2_PKT5_llS5_PT6_ll16rocsparse_order_21rocsparse_index_base_b.has_indirect_call, 0
	.section	.AMDGPU.csdata,"",@progbits
; Kernel info:
; codeLenInByte = 1656
; TotalNumSgprs: 42
; NumVgprs: 32
; NumAgprs: 0
; TotalNumVgprs: 32
; ScratchSize: 0
; MemoryBound: 0
; FloatMode: 240
; IeeeMode: 1
; LDSByteSize: 1536 bytes/workgroup (compile time only)
; SGPRBlocks: 5
; VGPRBlocks: 3
; NumSGPRsForWavesPerEU: 42
; NumVGPRsForWavesPerEU: 32
; AccumOffset: 32
; Occupancy: 8
; WaveLimiterHint : 1
; COMPUTE_PGM_RSRC2:SCRATCH_EN: 0
; COMPUTE_PGM_RSRC2:USER_SGPR: 2
; COMPUTE_PGM_RSRC2:TRAP_HANDLER: 0
; COMPUTE_PGM_RSRC2:TGID_X_EN: 1
; COMPUTE_PGM_RSRC2:TGID_Y_EN: 1
; COMPUTE_PGM_RSRC2:TGID_Z_EN: 0
; COMPUTE_PGM_RSRC2:TIDIG_COMP_CNT: 1
; COMPUTE_PGM_RSRC3_GFX90A:ACCUM_OFFSET: 7
; COMPUTE_PGM_RSRC3_GFX90A:TG_SPLIT: 0
	.section	.text._ZN9rocsparseL31bsrmm_large_blockdim_kernel_extILj4ELj16ELj2EiiddddEEvb20rocsparse_direction_T3_S2_llNS_24const_host_device_scalarIT7_EEPKT2_PKS2_PKT4_S2_PKT5_llS5_PT6_ll16rocsparse_order_21rocsparse_index_base_b,"axG",@progbits,_ZN9rocsparseL31bsrmm_large_blockdim_kernel_extILj4ELj16ELj2EiiddddEEvb20rocsparse_direction_T3_S2_llNS_24const_host_device_scalarIT7_EEPKT2_PKS2_PKT4_S2_PKT5_llS5_PT6_ll16rocsparse_order_21rocsparse_index_base_b,comdat
	.globl	_ZN9rocsparseL31bsrmm_large_blockdim_kernel_extILj4ELj16ELj2EiiddddEEvb20rocsparse_direction_T3_S2_llNS_24const_host_device_scalarIT7_EEPKT2_PKS2_PKT4_S2_PKT5_llS5_PT6_ll16rocsparse_order_21rocsparse_index_base_b ; -- Begin function _ZN9rocsparseL31bsrmm_large_blockdim_kernel_extILj4ELj16ELj2EiiddddEEvb20rocsparse_direction_T3_S2_llNS_24const_host_device_scalarIT7_EEPKT2_PKS2_PKT4_S2_PKT5_llS5_PT6_ll16rocsparse_order_21rocsparse_index_base_b
	.p2align	8
	.type	_ZN9rocsparseL31bsrmm_large_blockdim_kernel_extILj4ELj16ELj2EiiddddEEvb20rocsparse_direction_T3_S2_llNS_24const_host_device_scalarIT7_EEPKT2_PKS2_PKT4_S2_PKT5_llS5_PT6_ll16rocsparse_order_21rocsparse_index_base_b,@function
_ZN9rocsparseL31bsrmm_large_blockdim_kernel_extILj4ELj16ELj2EiiddddEEvb20rocsparse_direction_T3_S2_llNS_24const_host_device_scalarIT7_EEPKT2_PKS2_PKT4_S2_PKT5_llS5_PT6_ll16rocsparse_order_21rocsparse_index_base_b: ; @_ZN9rocsparseL31bsrmm_large_blockdim_kernel_extILj4ELj16ELj2EiiddddEEvb20rocsparse_direction_T3_S2_llNS_24const_host_device_scalarIT7_EEPKT2_PKS2_PKT4_S2_PKT5_llS5_PT6_ll16rocsparse_order_21rocsparse_index_base_b
; %bb.0:
	s_load_dwordx4 s[16:19], s[0:1], 0x80
	s_load_dwordx2 s[10:11], s[0:1], 0x20
	s_load_dwordx2 s[6:7], s[0:1], 0x60
	s_mov_b32 s4, s3
	s_waitcnt lgkmcnt(0)
	s_bitcmp1_b32 s18, 0
	s_cselect_b64 s[12:13], -1, 0
	s_xor_b64 s[8:9], s[12:13], -1
	s_and_b64 vcc, exec, s[12:13]
	v_mov_b64_e32 v[4:5], s[10:11]
	s_cbranch_vccnz .LBB13_2
; %bb.1:
	v_mov_b64_e32 v[2:3], s[10:11]
	flat_load_dwordx2 v[4:5], v[2:3]
.LBB13_2:
	s_andn2_b64 vcc, exec, s[8:9]
	v_mov_b64_e32 v[6:7], s[6:7]
	s_cbranch_vccnz .LBB13_4
; %bb.3:
	v_mov_b64_e32 v[2:3], s[6:7]
	flat_load_dwordx2 v[6:7], v[2:3]
.LBB13_4:
	s_waitcnt vmcnt(0) lgkmcnt(0)
	v_cmp_neq_f64_e32 vcc, 0, v[4:5]
	v_cmp_neq_f64_e64 s[6:7], 1.0, v[6:7]
	s_or_b64 s[6:7], vcc, s[6:7]
	s_and_saveexec_b64 s[8:9], s[6:7]
	s_cbranch_execz .LBB13_51
; %bb.5:
	s_load_dwordx4 s[12:15], s[0:1], 0x0
	s_load_dwordx2 s[6:7], s[0:1], 0x28
	s_mov_b32 s33, 0
	s_mov_b32 s30, 0
	s_waitcnt lgkmcnt(0)
	s_cmp_lt_i32 s2, s14
	s_cselect_b64 s[18:19], -1, 0
	s_cmp_ge_i32 s2, s14
	s_cbranch_scc1 .LBB13_7
; %bb.6:
	s_ashr_i32 s3, s2, 31
	s_lshl_b64 s[8:9], s[2:3], 2
	s_add_u32 s8, s6, s8
	s_addc_u32 s9, s7, s9
	s_load_dword s3, s[8:9], 0x0
	s_waitcnt lgkmcnt(0)
	s_sub_i32 s30, s3, s17
.LBB13_7:
	s_andn2_b64 vcc, exec, s[18:19]
	s_cbranch_vccnz .LBB13_9
; %bb.8:
	s_ashr_i32 s3, s2, 31
	s_lshl_b64 s[8:9], s[2:3], 2
	s_add_u32 s6, s6, s8
	s_addc_u32 s7, s7, s9
	s_load_dword s3, s[6:7], 0x4
	s_waitcnt lgkmcnt(0)
	s_sub_i32 s33, s3, s17
.LBB13_9:
	s_load_dwordx2 s[28:29], s[0:1], 0x68
	s_load_dword s3, s[0:1], 0x40
	v_bfe_u32 v2, v0, 10, 10
	v_lshl_add_u32 v10, s4, 5, v2
	v_add_u32_e32 v8, 16, v10
	v_and_b32_e32 v12, 0x3ff, v0
	s_waitcnt lgkmcnt(0)
	v_cmp_gt_i32_e32 vcc, s3, v12
	s_cmp_ge_i32 s30, s33
	v_cmp_gt_i32_e64 s[4:5], s15, v10
	v_cmp_gt_i32_e64 s[6:7], s15, v8
	s_cbranch_scc1 .LBB13_27
; %bb.10:
	s_load_dwordx4 s[20:23], s[0:1], 0x30
	s_load_dwordx4 s[24:27], s[0:1], 0x48
	v_cmp_gt_i32_e64 s[8:9], s3, v2
	s_and_b64 s[34:35], vcc, s[8:9]
	s_bitcmp1_b32 s12, 0
	v_mov_b32_e32 v0, 0x400
	v_lshlrev_b32_e32 v13, 5, v2
	s_cselect_b64 s[8:9], -1, 0
	v_lshl_add_u32 v18, v2, 3, v0
	s_cmp_eq_u32 s13, 0
	v_mad_u64_u32 v[0:1], s[10:11], s3, v2, v[12:13]
	v_mad_u64_u32 v[2:3], s[10:11], s3, v12, v[2:3]
	v_ashrrev_i32_e32 v11, 31, v10
	s_waitcnt lgkmcnt(0)
	v_mad_u64_u32 v[14:15], s[10:11], s26, v10, 0
	v_mad_u64_u32 v[16:17], s[10:11], s26, v8, 0
	v_mul_lo_u32 v1, s27, v10
	v_mul_lo_u32 v3, s26, v11
	v_ashrrev_i32_e32 v9, 31, v8
	s_cselect_b64 s[10:11], -1, 0
	v_lshlrev_b32_e32 v19, 3, v12
	v_lshlrev_b32_e32 v20, 5, v12
	v_add3_u32 v15, v15, v3, v1
	v_mul_lo_u32 v1, s27, v8
	v_mul_lo_u32 v3, s26, v9
	v_cndmask_b32_e64 v22, v0, v2, s[10:11]
	v_mov_b32_e32 v0, 0
	s_mul_i32 s14, s3, s3
	v_add3_u32 v17, v17, v3, v1
	v_add_u32_e32 v23, 0x400, v20
	v_add_u32_e32 v24, 0x200, v13
	v_mov_b32_e32 v1, v0
	v_mov_b32_e32 v2, v0
	;; [unrolled: 1-line block ×3, first 2 shown]
	v_add_u32_e32 v25, v18, v20
	v_add_u32_e32 v26, v19, v13
	s_branch .LBB13_13
.LBB13_11:                              ;   in Loop: Header=BB13_13 Depth=1
	s_or_b64 exec, exec, s[12:13]
.LBB13_12:                              ;   in Loop: Header=BB13_13 Depth=1
	s_or_b64 exec, exec, s[10:11]
	s_add_i32 s30, s30, 1
	s_cmp_ge_i32 s30, s33
	; wave barrier
	s_cbranch_scc1 .LBB13_28
.LBB13_13:                              ; =>This Loop Header: Depth=1
                                        ;     Child Loop BB13_23 Depth 2
                                        ;     Child Loop BB13_26 Depth 2
	s_and_saveexec_b64 s[10:11], vcc
	s_cbranch_execz .LBB13_18
; %bb.14:                               ;   in Loop: Header=BB13_13 Depth=1
	s_ashr_i32 s31, s30, 31
	s_lshl_b64 s[12:13], s[30:31], 2
	s_add_u32 s12, s20, s12
	s_addc_u32 s13, s21, s13
	s_load_dword s12, s[12:13], 0x0
	s_waitcnt lgkmcnt(0)
	s_sub_i32 s12, s12, s17
	s_mul_i32 s12, s12, s3
	v_add_u32_e32 v20, s12, v12
	v_ashrrev_i32_e32 v21, 31, v20
	v_mul_lo_u32 v27, s27, v20
	v_mad_u64_u32 v[18:19], s[12:13], s26, v20, 0
	v_mul_lo_u32 v28, s26, v21
	v_add3_u32 v19, v19, v28, v27
	v_lshl_add_u64 v[18:19], v[18:19], 3, s[24:25]
	v_lshl_add_u64 v[20:21], v[20:21], 3, s[24:25]
	s_and_saveexec_b64 s[12:13], s[4:5]
	s_cbranch_execz .LBB13_16
; %bb.15:                               ;   in Loop: Header=BB13_13 Depth=1
	v_lshl_add_u64 v[28:29], v[10:11], 3, v[18:19]
	v_lshl_add_u64 v[30:31], v[14:15], 3, v[20:21]
	v_cndmask_b32_e64 v29, v29, v31, s[8:9]
	v_cndmask_b32_e64 v28, v28, v30, s[8:9]
	global_load_dwordx2 v[28:29], v[28:29], off
	s_waitcnt vmcnt(0)
	ds_write_b64 v26, v[28:29]
.LBB13_16:                              ;   in Loop: Header=BB13_13 Depth=1
	s_or_b64 exec, exec, s[12:13]
	s_and_b64 exec, exec, s[6:7]
	s_cbranch_execz .LBB13_18
; %bb.17:                               ;   in Loop: Header=BB13_13 Depth=1
	v_lshl_add_u64 v[20:21], v[16:17], 3, v[20:21]
	v_lshl_add_u64 v[18:19], v[8:9], 3, v[18:19]
	v_cndmask_b32_e64 v19, v19, v21, s[8:9]
	v_cndmask_b32_e64 v18, v18, v20, s[8:9]
	global_load_dwordx2 v[18:19], v[18:19], off
	s_waitcnt vmcnt(0)
	ds_write_b64 v26, v[18:19] offset:512
.LBB13_18:                              ;   in Loop: Header=BB13_13 Depth=1
	s_or_b64 exec, exec, s[10:11]
	s_and_saveexec_b64 s[10:11], s[34:35]
	s_cbranch_execz .LBB13_20
; %bb.19:                               ;   in Loop: Header=BB13_13 Depth=1
	s_mul_i32 s12, s14, s30
	v_add_u32_e32 v18, s12, v22
	v_ashrrev_i32_e32 v19, 31, v18
	v_lshl_add_u64 v[18:19], v[18:19], 3, s[22:23]
	global_load_dwordx2 v[18:19], v[18:19], off
	s_waitcnt vmcnt(0)
	ds_write_b64 v25, v[18:19]
.LBB13_20:                              ;   in Loop: Header=BB13_13 Depth=1
	s_or_b64 exec, exec, s[10:11]
	s_waitcnt lgkmcnt(0)
	; wave barrier
	s_and_saveexec_b64 s[10:11], vcc
	s_cbranch_execz .LBB13_12
; %bb.21:                               ;   in Loop: Header=BB13_13 Depth=1
	s_and_saveexec_b64 s[12:13], s[4:5]
	s_cbranch_execz .LBB13_24
; %bb.22:                               ;   in Loop: Header=BB13_13 Depth=1
	v_mov_b32_e32 v18, v23
	v_mov_b32_e32 v19, v13
	s_mov_b32 s31, s3
.LBB13_23:                              ;   Parent Loop BB13_13 Depth=1
                                        ; =>  This Inner Loop Header: Depth=2
	ds_read_b64 v[20:21], v18
	ds_read_b64 v[28:29], v19
	s_add_i32 s31, s31, -1
	v_add_u32_e32 v19, 8, v19
	v_add_u32_e32 v18, 8, v18
	s_cmp_lg_u32 s31, 0
	s_waitcnt lgkmcnt(0)
	v_fmac_f64_e32 v[0:1], v[20:21], v[28:29]
	s_cbranch_scc1 .LBB13_23
.LBB13_24:                              ;   in Loop: Header=BB13_13 Depth=1
	s_or_b64 exec, exec, s[12:13]
	s_and_saveexec_b64 s[12:13], s[6:7]
	s_cbranch_execz .LBB13_11
; %bb.25:                               ;   in Loop: Header=BB13_13 Depth=1
	v_mov_b32_e32 v18, v23
	s_mov_b32 s31, s3
	v_mov_b32_e32 v19, v24
.LBB13_26:                              ;   Parent Loop BB13_13 Depth=1
                                        ; =>  This Inner Loop Header: Depth=2
	ds_read_b64 v[20:21], v18
	ds_read_b64 v[28:29], v19
	s_add_i32 s31, s31, -1
	v_add_u32_e32 v19, 8, v19
	v_add_u32_e32 v18, 8, v18
	s_cmp_lg_u32 s31, 0
	s_waitcnt lgkmcnt(0)
	v_fmac_f64_e32 v[2:3], v[20:21], v[28:29]
	s_cbranch_scc1 .LBB13_26
	s_branch .LBB13_11
.LBB13_27:
	v_mov_b32_e32 v0, 0
	v_mov_b32_e32 v1, v0
	;; [unrolled: 1-line block ×4, first 2 shown]
.LBB13_28:
	s_and_b64 s[4:5], s[18:19], vcc
	s_and_b64 exec, exec, s[4:5]
	s_cbranch_execz .LBB13_51
; %bb.29:
	s_load_dwordx2 s[4:5], s[0:1], 0x70
	s_mul_i32 s2, s3, s2
	v_add_u32_e32 v12, s2, v12
	v_ashrrev_i32_e32 v13, 31, v12
	s_cmp_lg_u32 s16, 1
	s_waitcnt lgkmcnt(0)
	v_mul_lo_u32 v9, s4, v13
	v_mul_lo_u32 v11, s5, v12
	v_mad_u64_u32 v[14:15], s[6:7], s4, v12, 0
	v_add3_u32 v15, v15, v9, v11
	v_cmp_neq_f64_e64 s[0:1], 0, v[6:7]
	s_cselect_b64 s[2:3], -1, 0
	v_lshl_add_u64 v[14:15], v[14:15], 3, s[28:29]
	v_lshl_add_u64 v[12:13], v[12:13], 3, s[28:29]
	v_cmp_gt_i32_e32 vcc, s15, v10
	s_and_saveexec_b64 s[6:7], vcc
	s_cbranch_execz .LBB13_40
; %bb.30:
	v_ashrrev_i32_e32 v11, 31, v10
	s_and_saveexec_b64 s[8:9], s[0:1]
	s_xor_b64 s[8:9], exec, s[8:9]
	s_cbranch_execz .LBB13_35
; %bb.31:
	s_mov_b64 s[10:11], -1
	s_and_b64 vcc, exec, s[2:3]
	s_cbranch_vccz .LBB13_33
; %bb.32:
	v_lshl_add_u64 v[16:17], v[10:11], 3, v[14:15]
	global_load_dwordx2 v[18:19], v[16:17], off
	v_mul_f64 v[20:21], v[4:5], v[0:1]
	s_mov_b64 s[10:11], 0
	s_waitcnt vmcnt(0)
	v_fmac_f64_e32 v[20:21], v[6:7], v[18:19]
	global_store_dwordx2 v[16:17], v[20:21], off
.LBB13_33:
	s_andn2_b64 vcc, exec, s[10:11]
	s_cbranch_vccnz .LBB13_35
; %bb.34:
	v_mul_lo_u32 v9, s5, v10
	v_mul_lo_u32 v16, s4, v11
	v_mad_u64_u32 v[10:11], s[10:11], s4, v10, 0
	v_add3_u32 v11, v11, v16, v9
	v_lshl_add_u64 v[10:11], v[10:11], 3, v[12:13]
	global_load_dwordx2 v[16:17], v[10:11], off
	v_mul_f64 v[18:19], v[4:5], v[0:1]
	s_waitcnt vmcnt(0)
	v_fmac_f64_e32 v[18:19], v[6:7], v[16:17]
	global_store_dwordx2 v[10:11], v[18:19], off
                                        ; implicit-def: $vgpr10
.LBB13_35:
	s_andn2_saveexec_b64 s[8:9], s[8:9]
	s_cbranch_execz .LBB13_40
; %bb.36:
	v_mul_f64 v[0:1], v[4:5], v[0:1]
	s_mov_b64 s[8:9], -1
	s_and_b64 vcc, exec, s[2:3]
	s_cbranch_vccz .LBB13_38
; %bb.37:
	v_lshl_add_u64 v[16:17], v[10:11], 3, v[14:15]
	global_store_dwordx2 v[16:17], v[0:1], off
	s_mov_b64 s[8:9], 0
.LBB13_38:
	s_andn2_b64 vcc, exec, s[8:9]
	s_cbranch_vccnz .LBB13_40
; %bb.39:
	v_mul_lo_u32 v9, s5, v10
	v_mul_lo_u32 v16, s4, v11
	v_mad_u64_u32 v[10:11], s[8:9], s4, v10, 0
	v_add3_u32 v11, v11, v16, v9
	v_lshl_add_u64 v[10:11], v[10:11], 3, v[12:13]
	global_store_dwordx2 v[10:11], v[0:1], off
.LBB13_40:
	s_or_b64 exec, exec, s[6:7]
	v_cmp_gt_i32_e32 vcc, s15, v8
	s_and_b64 exec, exec, vcc
	s_cbranch_execz .LBB13_51
; %bb.41:
	v_cndmask_b32_e64 v0, 0, 1, s[2:3]
	v_ashrrev_i32_e32 v9, 31, v8
	v_cmp_ne_u32_e64 s[2:3], 1, v0
	s_and_saveexec_b64 s[6:7], s[0:1]
	s_xor_b64 s[0:1], exec, s[6:7]
	s_cbranch_execz .LBB13_46
; %bb.42:
	s_and_b64 vcc, exec, s[2:3]
	s_mov_b64 s[6:7], -1
	s_cbranch_vccnz .LBB13_44
; %bb.43:
	v_lshl_add_u64 v[0:1], v[8:9], 3, v[14:15]
	global_load_dwordx2 v[10:11], v[0:1], off
	v_mul_f64 v[14:15], v[4:5], v[2:3]
	s_mov_b64 s[6:7], 0
	s_waitcnt vmcnt(0)
	v_fmac_f64_e32 v[14:15], v[6:7], v[10:11]
	global_store_dwordx2 v[0:1], v[14:15], off
.LBB13_44:
	s_andn2_b64 vcc, exec, s[6:7]
                                        ; implicit-def: $vgpr14_vgpr15
	s_cbranch_vccnz .LBB13_46
; %bb.45:
	v_mul_lo_u32 v10, s5, v8
	v_mul_lo_u32 v9, s4, v9
	v_mad_u64_u32 v[0:1], s[6:7], s4, v8, 0
	v_add3_u32 v1, v1, v9, v10
	v_lshl_add_u64 v[0:1], v[0:1], 3, v[12:13]
	global_load_dwordx2 v[8:9], v[0:1], off
	v_mul_f64 v[2:3], v[4:5], v[2:3]
                                        ; implicit-def: $vgpr12_vgpr13
                                        ; implicit-def: $vgpr4_vgpr5
                                        ; implicit-def: $vgpr14_vgpr15
	s_waitcnt vmcnt(0)
	v_fmac_f64_e32 v[2:3], v[6:7], v[8:9]
	global_store_dwordx2 v[0:1], v[2:3], off
                                        ; implicit-def: $vgpr0_vgpr1_vgpr2_vgpr3
                                        ; implicit-def: $vgpr8
.LBB13_46:
	s_andn2_saveexec_b64 s[0:1], s[0:1]
	s_cbranch_execz .LBB13_51
; %bb.47:
	v_mul_f64 v[0:1], v[4:5], v[2:3]
	s_and_b64 vcc, exec, s[2:3]
	s_mov_b64 s[0:1], -1
	s_cbranch_vccnz .LBB13_49
; %bb.48:
	v_lshl_add_u64 v[2:3], v[8:9], 3, v[14:15]
	s_mov_b64 s[0:1], 0
	global_store_dwordx2 v[2:3], v[0:1], off
.LBB13_49:
	s_andn2_b64 vcc, exec, s[0:1]
	s_cbranch_vccnz .LBB13_51
; %bb.50:
	v_mul_lo_u32 v4, s5, v8
	v_mul_lo_u32 v5, s4, v9
	v_mad_u64_u32 v[2:3], s[0:1], s4, v8, 0
	v_add3_u32 v3, v3, v5, v4
	v_lshl_add_u64 v[2:3], v[2:3], 3, v[12:13]
	global_store_dwordx2 v[2:3], v[0:1], off
.LBB13_51:
	s_endpgm
	.section	.rodata,"a",@progbits
	.p2align	6, 0x0
	.amdhsa_kernel _ZN9rocsparseL31bsrmm_large_blockdim_kernel_extILj4ELj16ELj2EiiddddEEvb20rocsparse_direction_T3_S2_llNS_24const_host_device_scalarIT7_EEPKT2_PKS2_PKT4_S2_PKT5_llS5_PT6_ll16rocsparse_order_21rocsparse_index_base_b
		.amdhsa_group_segment_fixed_size 1152
		.amdhsa_private_segment_fixed_size 0
		.amdhsa_kernarg_size 140
		.amdhsa_user_sgpr_count 2
		.amdhsa_user_sgpr_dispatch_ptr 0
		.amdhsa_user_sgpr_queue_ptr 0
		.amdhsa_user_sgpr_kernarg_segment_ptr 1
		.amdhsa_user_sgpr_dispatch_id 0
		.amdhsa_user_sgpr_kernarg_preload_length 0
		.amdhsa_user_sgpr_kernarg_preload_offset 0
		.amdhsa_user_sgpr_private_segment_size 0
		.amdhsa_uses_dynamic_stack 0
		.amdhsa_enable_private_segment 0
		.amdhsa_system_sgpr_workgroup_id_x 1
		.amdhsa_system_sgpr_workgroup_id_y 1
		.amdhsa_system_sgpr_workgroup_id_z 0
		.amdhsa_system_sgpr_workgroup_info 0
		.amdhsa_system_vgpr_workitem_id 1
		.amdhsa_next_free_vgpr 32
		.amdhsa_next_free_sgpr 36
		.amdhsa_accum_offset 32
		.amdhsa_reserve_vcc 1
		.amdhsa_float_round_mode_32 0
		.amdhsa_float_round_mode_16_64 0
		.amdhsa_float_denorm_mode_32 3
		.amdhsa_float_denorm_mode_16_64 3
		.amdhsa_dx10_clamp 1
		.amdhsa_ieee_mode 1
		.amdhsa_fp16_overflow 0
		.amdhsa_tg_split 0
		.amdhsa_exception_fp_ieee_invalid_op 0
		.amdhsa_exception_fp_denorm_src 0
		.amdhsa_exception_fp_ieee_div_zero 0
		.amdhsa_exception_fp_ieee_overflow 0
		.amdhsa_exception_fp_ieee_underflow 0
		.amdhsa_exception_fp_ieee_inexact 0
		.amdhsa_exception_int_div_zero 0
	.end_amdhsa_kernel
	.section	.text._ZN9rocsparseL31bsrmm_large_blockdim_kernel_extILj4ELj16ELj2EiiddddEEvb20rocsparse_direction_T3_S2_llNS_24const_host_device_scalarIT7_EEPKT2_PKS2_PKT4_S2_PKT5_llS5_PT6_ll16rocsparse_order_21rocsparse_index_base_b,"axG",@progbits,_ZN9rocsparseL31bsrmm_large_blockdim_kernel_extILj4ELj16ELj2EiiddddEEvb20rocsparse_direction_T3_S2_llNS_24const_host_device_scalarIT7_EEPKT2_PKS2_PKT4_S2_PKT5_llS5_PT6_ll16rocsparse_order_21rocsparse_index_base_b,comdat
.Lfunc_end13:
	.size	_ZN9rocsparseL31bsrmm_large_blockdim_kernel_extILj4ELj16ELj2EiiddddEEvb20rocsparse_direction_T3_S2_llNS_24const_host_device_scalarIT7_EEPKT2_PKS2_PKT4_S2_PKT5_llS5_PT6_ll16rocsparse_order_21rocsparse_index_base_b, .Lfunc_end13-_ZN9rocsparseL31bsrmm_large_blockdim_kernel_extILj4ELj16ELj2EiiddddEEvb20rocsparse_direction_T3_S2_llNS_24const_host_device_scalarIT7_EEPKT2_PKS2_PKT4_S2_PKT5_llS5_PT6_ll16rocsparse_order_21rocsparse_index_base_b
                                        ; -- End function
	.set _ZN9rocsparseL31bsrmm_large_blockdim_kernel_extILj4ELj16ELj2EiiddddEEvb20rocsparse_direction_T3_S2_llNS_24const_host_device_scalarIT7_EEPKT2_PKS2_PKT4_S2_PKT5_llS5_PT6_ll16rocsparse_order_21rocsparse_index_base_b.num_vgpr, 32
	.set _ZN9rocsparseL31bsrmm_large_blockdim_kernel_extILj4ELj16ELj2EiiddddEEvb20rocsparse_direction_T3_S2_llNS_24const_host_device_scalarIT7_EEPKT2_PKS2_PKT4_S2_PKT5_llS5_PT6_ll16rocsparse_order_21rocsparse_index_base_b.num_agpr, 0
	.set _ZN9rocsparseL31bsrmm_large_blockdim_kernel_extILj4ELj16ELj2EiiddddEEvb20rocsparse_direction_T3_S2_llNS_24const_host_device_scalarIT7_EEPKT2_PKS2_PKT4_S2_PKT5_llS5_PT6_ll16rocsparse_order_21rocsparse_index_base_b.numbered_sgpr, 36
	.set _ZN9rocsparseL31bsrmm_large_blockdim_kernel_extILj4ELj16ELj2EiiddddEEvb20rocsparse_direction_T3_S2_llNS_24const_host_device_scalarIT7_EEPKT2_PKS2_PKT4_S2_PKT5_llS5_PT6_ll16rocsparse_order_21rocsparse_index_base_b.num_named_barrier, 0
	.set _ZN9rocsparseL31bsrmm_large_blockdim_kernel_extILj4ELj16ELj2EiiddddEEvb20rocsparse_direction_T3_S2_llNS_24const_host_device_scalarIT7_EEPKT2_PKS2_PKT4_S2_PKT5_llS5_PT6_ll16rocsparse_order_21rocsparse_index_base_b.private_seg_size, 0
	.set _ZN9rocsparseL31bsrmm_large_blockdim_kernel_extILj4ELj16ELj2EiiddddEEvb20rocsparse_direction_T3_S2_llNS_24const_host_device_scalarIT7_EEPKT2_PKS2_PKT4_S2_PKT5_llS5_PT6_ll16rocsparse_order_21rocsparse_index_base_b.uses_vcc, 1
	.set _ZN9rocsparseL31bsrmm_large_blockdim_kernel_extILj4ELj16ELj2EiiddddEEvb20rocsparse_direction_T3_S2_llNS_24const_host_device_scalarIT7_EEPKT2_PKS2_PKT4_S2_PKT5_llS5_PT6_ll16rocsparse_order_21rocsparse_index_base_b.uses_flat_scratch, 0
	.set _ZN9rocsparseL31bsrmm_large_blockdim_kernel_extILj4ELj16ELj2EiiddddEEvb20rocsparse_direction_T3_S2_llNS_24const_host_device_scalarIT7_EEPKT2_PKS2_PKT4_S2_PKT5_llS5_PT6_ll16rocsparse_order_21rocsparse_index_base_b.has_dyn_sized_stack, 0
	.set _ZN9rocsparseL31bsrmm_large_blockdim_kernel_extILj4ELj16ELj2EiiddddEEvb20rocsparse_direction_T3_S2_llNS_24const_host_device_scalarIT7_EEPKT2_PKS2_PKT4_S2_PKT5_llS5_PT6_ll16rocsparse_order_21rocsparse_index_base_b.has_recursion, 0
	.set _ZN9rocsparseL31bsrmm_large_blockdim_kernel_extILj4ELj16ELj2EiiddddEEvb20rocsparse_direction_T3_S2_llNS_24const_host_device_scalarIT7_EEPKT2_PKS2_PKT4_S2_PKT5_llS5_PT6_ll16rocsparse_order_21rocsparse_index_base_b.has_indirect_call, 0
	.section	.AMDGPU.csdata,"",@progbits
; Kernel info:
; codeLenInByte = 1656
; TotalNumSgprs: 42
; NumVgprs: 32
; NumAgprs: 0
; TotalNumVgprs: 32
; ScratchSize: 0
; MemoryBound: 0
; FloatMode: 240
; IeeeMode: 1
; LDSByteSize: 1152 bytes/workgroup (compile time only)
; SGPRBlocks: 5
; VGPRBlocks: 3
; NumSGPRsForWavesPerEU: 42
; NumVGPRsForWavesPerEU: 32
; AccumOffset: 32
; Occupancy: 8
; WaveLimiterHint : 1
; COMPUTE_PGM_RSRC2:SCRATCH_EN: 0
; COMPUTE_PGM_RSRC2:USER_SGPR: 2
; COMPUTE_PGM_RSRC2:TRAP_HANDLER: 0
; COMPUTE_PGM_RSRC2:TGID_X_EN: 1
; COMPUTE_PGM_RSRC2:TGID_Y_EN: 1
; COMPUTE_PGM_RSRC2:TGID_Z_EN: 0
; COMPUTE_PGM_RSRC2:TIDIG_COMP_CNT: 1
; COMPUTE_PGM_RSRC3_GFX90A:ACCUM_OFFSET: 7
; COMPUTE_PGM_RSRC3_GFX90A:TG_SPLIT: 0
	.section	.text._ZN9rocsparseL31bsrmm_large_blockdim_kernel_extILj16ELj16ELj2EiiddddEEvb20rocsparse_direction_T3_S2_llNS_24const_host_device_scalarIT7_EEPKT2_PKS2_PKT4_S2_PKT5_llS5_PT6_ll16rocsparse_order_21rocsparse_index_base_b,"axG",@progbits,_ZN9rocsparseL31bsrmm_large_blockdim_kernel_extILj16ELj16ELj2EiiddddEEvb20rocsparse_direction_T3_S2_llNS_24const_host_device_scalarIT7_EEPKT2_PKS2_PKT4_S2_PKT5_llS5_PT6_ll16rocsparse_order_21rocsparse_index_base_b,comdat
	.globl	_ZN9rocsparseL31bsrmm_large_blockdim_kernel_extILj16ELj16ELj2EiiddddEEvb20rocsparse_direction_T3_S2_llNS_24const_host_device_scalarIT7_EEPKT2_PKS2_PKT4_S2_PKT5_llS5_PT6_ll16rocsparse_order_21rocsparse_index_base_b ; -- Begin function _ZN9rocsparseL31bsrmm_large_blockdim_kernel_extILj16ELj16ELj2EiiddddEEvb20rocsparse_direction_T3_S2_llNS_24const_host_device_scalarIT7_EEPKT2_PKS2_PKT4_S2_PKT5_llS5_PT6_ll16rocsparse_order_21rocsparse_index_base_b
	.p2align	8
	.type	_ZN9rocsparseL31bsrmm_large_blockdim_kernel_extILj16ELj16ELj2EiiddddEEvb20rocsparse_direction_T3_S2_llNS_24const_host_device_scalarIT7_EEPKT2_PKS2_PKT4_S2_PKT5_llS5_PT6_ll16rocsparse_order_21rocsparse_index_base_b,@function
_ZN9rocsparseL31bsrmm_large_blockdim_kernel_extILj16ELj16ELj2EiiddddEEvb20rocsparse_direction_T3_S2_llNS_24const_host_device_scalarIT7_EEPKT2_PKS2_PKT4_S2_PKT5_llS5_PT6_ll16rocsparse_order_21rocsparse_index_base_b: ; @_ZN9rocsparseL31bsrmm_large_blockdim_kernel_extILj16ELj16ELj2EiiddddEEvb20rocsparse_direction_T3_S2_llNS_24const_host_device_scalarIT7_EEPKT2_PKS2_PKT4_S2_PKT5_llS5_PT6_ll16rocsparse_order_21rocsparse_index_base_b
; %bb.0:
	s_load_dwordx4 s[16:19], s[0:1], 0x80
	s_load_dwordx2 s[10:11], s[0:1], 0x20
	s_load_dwordx2 s[6:7], s[0:1], 0x60
	s_mov_b32 s4, s3
	s_waitcnt lgkmcnt(0)
	s_bitcmp1_b32 s18, 0
	s_cselect_b64 s[12:13], -1, 0
	s_xor_b64 s[8:9], s[12:13], -1
	s_and_b64 vcc, exec, s[12:13]
	v_mov_b64_e32 v[4:5], s[10:11]
	s_cbranch_vccnz .LBB14_2
; %bb.1:
	v_mov_b64_e32 v[2:3], s[10:11]
	flat_load_dwordx2 v[4:5], v[2:3]
.LBB14_2:
	s_andn2_b64 vcc, exec, s[8:9]
	v_mov_b64_e32 v[6:7], s[6:7]
	s_cbranch_vccnz .LBB14_4
; %bb.3:
	v_mov_b64_e32 v[2:3], s[6:7]
	flat_load_dwordx2 v[6:7], v[2:3]
.LBB14_4:
	s_waitcnt vmcnt(0) lgkmcnt(0)
	v_cmp_neq_f64_e32 vcc, 0, v[4:5]
	v_cmp_neq_f64_e64 s[6:7], 1.0, v[6:7]
	s_or_b64 s[6:7], vcc, s[6:7]
	s_and_saveexec_b64 s[8:9], s[6:7]
	s_cbranch_execz .LBB14_51
; %bb.5:
	s_load_dwordx4 s[12:15], s[0:1], 0x0
	s_load_dwordx2 s[6:7], s[0:1], 0x28
	s_mov_b32 s33, 0
	s_mov_b32 s30, 0
	s_waitcnt lgkmcnt(0)
	s_cmp_lt_i32 s2, s14
	s_cselect_b64 s[18:19], -1, 0
	s_cmp_ge_i32 s2, s14
	s_cbranch_scc1 .LBB14_7
; %bb.6:
	s_ashr_i32 s3, s2, 31
	s_lshl_b64 s[8:9], s[2:3], 2
	s_add_u32 s8, s6, s8
	s_addc_u32 s9, s7, s9
	s_load_dword s3, s[8:9], 0x0
	s_waitcnt lgkmcnt(0)
	s_sub_i32 s30, s3, s17
.LBB14_7:
	s_andn2_b64 vcc, exec, s[18:19]
	s_cbranch_vccnz .LBB14_9
; %bb.8:
	s_ashr_i32 s3, s2, 31
	s_lshl_b64 s[8:9], s[2:3], 2
	s_add_u32 s6, s6, s8
	s_addc_u32 s7, s7, s9
	s_load_dword s3, s[6:7], 0x4
	s_waitcnt lgkmcnt(0)
	s_sub_i32 s33, s3, s17
.LBB14_9:
	s_load_dwordx2 s[28:29], s[0:1], 0x68
	s_load_dword s3, s[0:1], 0x40
	v_bfe_u32 v2, v0, 10, 10
	v_lshl_add_u32 v10, s4, 5, v2
	v_add_u32_e32 v8, 16, v10
	v_and_b32_e32 v12, 0x3ff, v0
	s_waitcnt lgkmcnt(0)
	v_cmp_gt_i32_e32 vcc, s3, v12
	s_cmp_ge_i32 s30, s33
	v_cmp_gt_i32_e64 s[4:5], s15, v10
	v_cmp_gt_i32_e64 s[6:7], s15, v8
	s_cbranch_scc1 .LBB14_27
; %bb.10:
	s_load_dwordx4 s[20:23], s[0:1], 0x30
	s_load_dwordx4 s[24:27], s[0:1], 0x48
	v_cmp_gt_i32_e64 s[8:9], s3, v2
	s_and_b64 s[34:35], vcc, s[8:9]
	s_bitcmp1_b32 s12, 0
	v_mov_b32_e32 v0, 0x1000
	v_lshlrev_b32_e32 v13, 7, v2
	s_cselect_b64 s[8:9], -1, 0
	v_lshl_add_u32 v18, v2, 3, v0
	s_cmp_eq_u32 s13, 0
	v_mad_u64_u32 v[0:1], s[10:11], s3, v2, v[12:13]
	v_mad_u64_u32 v[2:3], s[10:11], s3, v12, v[2:3]
	v_ashrrev_i32_e32 v11, 31, v10
	s_waitcnt lgkmcnt(0)
	v_mad_u64_u32 v[14:15], s[10:11], s26, v10, 0
	v_mad_u64_u32 v[16:17], s[10:11], s26, v8, 0
	v_mul_lo_u32 v1, s27, v10
	v_mul_lo_u32 v3, s26, v11
	v_ashrrev_i32_e32 v9, 31, v8
	s_cselect_b64 s[10:11], -1, 0
	v_lshlrev_b32_e32 v19, 3, v12
	v_lshlrev_b32_e32 v20, 7, v12
	v_add3_u32 v15, v15, v3, v1
	v_mul_lo_u32 v1, s27, v8
	v_mul_lo_u32 v3, s26, v9
	v_cndmask_b32_e64 v22, v0, v2, s[10:11]
	v_mov_b32_e32 v0, 0
	s_mul_i32 s14, s3, s3
	v_add3_u32 v17, v17, v3, v1
	v_add_u32_e32 v23, 0x1000, v20
	v_add_u32_e32 v24, 0x800, v13
	v_mov_b32_e32 v1, v0
	v_mov_b32_e32 v2, v0
	;; [unrolled: 1-line block ×3, first 2 shown]
	v_add_u32_e32 v25, v19, v13
	v_add_u32_e32 v26, v18, v20
	s_branch .LBB14_13
.LBB14_11:                              ;   in Loop: Header=BB14_13 Depth=1
	s_or_b64 exec, exec, s[12:13]
.LBB14_12:                              ;   in Loop: Header=BB14_13 Depth=1
	s_or_b64 exec, exec, s[10:11]
	s_add_i32 s30, s30, 1
	s_cmp_ge_i32 s30, s33
	s_barrier
	s_cbranch_scc1 .LBB14_28
.LBB14_13:                              ; =>This Loop Header: Depth=1
                                        ;     Child Loop BB14_23 Depth 2
                                        ;     Child Loop BB14_26 Depth 2
	s_and_saveexec_b64 s[10:11], vcc
	s_cbranch_execz .LBB14_18
; %bb.14:                               ;   in Loop: Header=BB14_13 Depth=1
	s_ashr_i32 s31, s30, 31
	s_lshl_b64 s[12:13], s[30:31], 2
	s_add_u32 s12, s20, s12
	s_addc_u32 s13, s21, s13
	s_load_dword s12, s[12:13], 0x0
	s_waitcnt lgkmcnt(0)
	s_sub_i32 s12, s12, s17
	s_mul_i32 s12, s12, s3
	v_add_u32_e32 v20, s12, v12
	v_ashrrev_i32_e32 v21, 31, v20
	v_mul_lo_u32 v27, s27, v20
	v_mad_u64_u32 v[18:19], s[12:13], s26, v20, 0
	v_mul_lo_u32 v28, s26, v21
	v_add3_u32 v19, v19, v28, v27
	v_lshl_add_u64 v[18:19], v[18:19], 3, s[24:25]
	v_lshl_add_u64 v[20:21], v[20:21], 3, s[24:25]
	s_and_saveexec_b64 s[12:13], s[4:5]
	s_cbranch_execz .LBB14_16
; %bb.15:                               ;   in Loop: Header=BB14_13 Depth=1
	v_lshl_add_u64 v[28:29], v[10:11], 3, v[18:19]
	v_lshl_add_u64 v[30:31], v[14:15], 3, v[20:21]
	v_cndmask_b32_e64 v29, v29, v31, s[8:9]
	v_cndmask_b32_e64 v28, v28, v30, s[8:9]
	global_load_dwordx2 v[28:29], v[28:29], off
	s_waitcnt vmcnt(0)
	ds_write_b64 v25, v[28:29]
.LBB14_16:                              ;   in Loop: Header=BB14_13 Depth=1
	s_or_b64 exec, exec, s[12:13]
	s_and_b64 exec, exec, s[6:7]
	s_cbranch_execz .LBB14_18
; %bb.17:                               ;   in Loop: Header=BB14_13 Depth=1
	v_lshl_add_u64 v[20:21], v[16:17], 3, v[20:21]
	v_lshl_add_u64 v[18:19], v[8:9], 3, v[18:19]
	v_cndmask_b32_e64 v19, v19, v21, s[8:9]
	v_cndmask_b32_e64 v18, v18, v20, s[8:9]
	global_load_dwordx2 v[18:19], v[18:19], off
	s_waitcnt vmcnt(0)
	ds_write_b64 v25, v[18:19] offset:2048
.LBB14_18:                              ;   in Loop: Header=BB14_13 Depth=1
	s_or_b64 exec, exec, s[10:11]
	s_and_saveexec_b64 s[10:11], s[34:35]
	s_cbranch_execz .LBB14_20
; %bb.19:                               ;   in Loop: Header=BB14_13 Depth=1
	s_mul_i32 s12, s14, s30
	v_add_u32_e32 v18, s12, v22
	v_ashrrev_i32_e32 v19, 31, v18
	v_lshl_add_u64 v[18:19], v[18:19], 3, s[22:23]
	global_load_dwordx2 v[18:19], v[18:19], off
	s_waitcnt vmcnt(0)
	ds_write_b64 v26, v[18:19]
.LBB14_20:                              ;   in Loop: Header=BB14_13 Depth=1
	s_or_b64 exec, exec, s[10:11]
	s_waitcnt lgkmcnt(0)
	s_barrier
	s_and_saveexec_b64 s[10:11], vcc
	s_cbranch_execz .LBB14_12
; %bb.21:                               ;   in Loop: Header=BB14_13 Depth=1
	s_and_saveexec_b64 s[12:13], s[4:5]
	s_cbranch_execz .LBB14_24
; %bb.22:                               ;   in Loop: Header=BB14_13 Depth=1
	v_mov_b32_e32 v18, v23
	v_mov_b32_e32 v19, v13
	s_mov_b32 s31, s3
.LBB14_23:                              ;   Parent Loop BB14_13 Depth=1
                                        ; =>  This Inner Loop Header: Depth=2
	ds_read_b64 v[20:21], v18
	ds_read_b64 v[28:29], v19
	s_add_i32 s31, s31, -1
	v_add_u32_e32 v19, 8, v19
	v_add_u32_e32 v18, 8, v18
	s_cmp_lg_u32 s31, 0
	s_waitcnt lgkmcnt(0)
	v_fmac_f64_e32 v[0:1], v[20:21], v[28:29]
	s_cbranch_scc1 .LBB14_23
.LBB14_24:                              ;   in Loop: Header=BB14_13 Depth=1
	s_or_b64 exec, exec, s[12:13]
	s_and_saveexec_b64 s[12:13], s[6:7]
	s_cbranch_execz .LBB14_11
; %bb.25:                               ;   in Loop: Header=BB14_13 Depth=1
	v_mov_b32_e32 v18, v23
	s_mov_b32 s31, s3
	v_mov_b32_e32 v19, v24
.LBB14_26:                              ;   Parent Loop BB14_13 Depth=1
                                        ; =>  This Inner Loop Header: Depth=2
	ds_read_b64 v[20:21], v18
	ds_read_b64 v[28:29], v19
	s_add_i32 s31, s31, -1
	v_add_u32_e32 v19, 8, v19
	v_add_u32_e32 v18, 8, v18
	s_cmp_lg_u32 s31, 0
	s_waitcnt lgkmcnt(0)
	v_fmac_f64_e32 v[2:3], v[20:21], v[28:29]
	s_cbranch_scc1 .LBB14_26
	s_branch .LBB14_11
.LBB14_27:
	v_mov_b32_e32 v0, 0
	v_mov_b32_e32 v1, v0
	;; [unrolled: 1-line block ×4, first 2 shown]
.LBB14_28:
	s_and_b64 s[4:5], s[18:19], vcc
	s_and_b64 exec, exec, s[4:5]
	s_cbranch_execz .LBB14_51
; %bb.29:
	s_load_dwordx2 s[4:5], s[0:1], 0x70
	s_mul_i32 s2, s3, s2
	v_add_u32_e32 v12, s2, v12
	v_ashrrev_i32_e32 v13, 31, v12
	s_cmp_lg_u32 s16, 1
	s_waitcnt lgkmcnt(0)
	v_mul_lo_u32 v9, s4, v13
	v_mul_lo_u32 v11, s5, v12
	v_mad_u64_u32 v[14:15], s[6:7], s4, v12, 0
	v_add3_u32 v15, v15, v9, v11
	v_cmp_neq_f64_e64 s[0:1], 0, v[6:7]
	s_cselect_b64 s[2:3], -1, 0
	v_lshl_add_u64 v[14:15], v[14:15], 3, s[28:29]
	v_lshl_add_u64 v[12:13], v[12:13], 3, s[28:29]
	v_cmp_gt_i32_e32 vcc, s15, v10
	s_and_saveexec_b64 s[6:7], vcc
	s_cbranch_execz .LBB14_40
; %bb.30:
	v_ashrrev_i32_e32 v11, 31, v10
	s_and_saveexec_b64 s[8:9], s[0:1]
	s_xor_b64 s[8:9], exec, s[8:9]
	s_cbranch_execz .LBB14_35
; %bb.31:
	s_mov_b64 s[10:11], -1
	s_and_b64 vcc, exec, s[2:3]
	s_cbranch_vccz .LBB14_33
; %bb.32:
	v_lshl_add_u64 v[16:17], v[10:11], 3, v[14:15]
	global_load_dwordx2 v[18:19], v[16:17], off
	v_mul_f64 v[20:21], v[4:5], v[0:1]
	s_mov_b64 s[10:11], 0
	s_waitcnt vmcnt(0)
	v_fmac_f64_e32 v[20:21], v[6:7], v[18:19]
	global_store_dwordx2 v[16:17], v[20:21], off
.LBB14_33:
	s_andn2_b64 vcc, exec, s[10:11]
	s_cbranch_vccnz .LBB14_35
; %bb.34:
	v_mul_lo_u32 v9, s5, v10
	v_mul_lo_u32 v16, s4, v11
	v_mad_u64_u32 v[10:11], s[10:11], s4, v10, 0
	v_add3_u32 v11, v11, v16, v9
	v_lshl_add_u64 v[10:11], v[10:11], 3, v[12:13]
	global_load_dwordx2 v[16:17], v[10:11], off
	v_mul_f64 v[18:19], v[4:5], v[0:1]
	s_waitcnt vmcnt(0)
	v_fmac_f64_e32 v[18:19], v[6:7], v[16:17]
	global_store_dwordx2 v[10:11], v[18:19], off
                                        ; implicit-def: $vgpr10
.LBB14_35:
	s_andn2_saveexec_b64 s[8:9], s[8:9]
	s_cbranch_execz .LBB14_40
; %bb.36:
	v_mul_f64 v[0:1], v[4:5], v[0:1]
	s_mov_b64 s[8:9], -1
	s_and_b64 vcc, exec, s[2:3]
	s_cbranch_vccz .LBB14_38
; %bb.37:
	v_lshl_add_u64 v[16:17], v[10:11], 3, v[14:15]
	global_store_dwordx2 v[16:17], v[0:1], off
	s_mov_b64 s[8:9], 0
.LBB14_38:
	s_andn2_b64 vcc, exec, s[8:9]
	s_cbranch_vccnz .LBB14_40
; %bb.39:
	v_mul_lo_u32 v9, s5, v10
	v_mul_lo_u32 v16, s4, v11
	v_mad_u64_u32 v[10:11], s[8:9], s4, v10, 0
	v_add3_u32 v11, v11, v16, v9
	v_lshl_add_u64 v[10:11], v[10:11], 3, v[12:13]
	global_store_dwordx2 v[10:11], v[0:1], off
.LBB14_40:
	s_or_b64 exec, exec, s[6:7]
	v_cmp_gt_i32_e32 vcc, s15, v8
	s_and_b64 exec, exec, vcc
	s_cbranch_execz .LBB14_51
; %bb.41:
	v_cndmask_b32_e64 v0, 0, 1, s[2:3]
	v_ashrrev_i32_e32 v9, 31, v8
	v_cmp_ne_u32_e64 s[2:3], 1, v0
	s_and_saveexec_b64 s[6:7], s[0:1]
	s_xor_b64 s[0:1], exec, s[6:7]
	s_cbranch_execz .LBB14_46
; %bb.42:
	s_and_b64 vcc, exec, s[2:3]
	s_mov_b64 s[6:7], -1
	s_cbranch_vccnz .LBB14_44
; %bb.43:
	v_lshl_add_u64 v[0:1], v[8:9], 3, v[14:15]
	global_load_dwordx2 v[10:11], v[0:1], off
	v_mul_f64 v[14:15], v[4:5], v[2:3]
	s_mov_b64 s[6:7], 0
	s_waitcnt vmcnt(0)
	v_fmac_f64_e32 v[14:15], v[6:7], v[10:11]
	global_store_dwordx2 v[0:1], v[14:15], off
.LBB14_44:
	s_andn2_b64 vcc, exec, s[6:7]
                                        ; implicit-def: $vgpr14_vgpr15
	s_cbranch_vccnz .LBB14_46
; %bb.45:
	v_mul_lo_u32 v10, s5, v8
	v_mul_lo_u32 v9, s4, v9
	v_mad_u64_u32 v[0:1], s[6:7], s4, v8, 0
	v_add3_u32 v1, v1, v9, v10
	v_lshl_add_u64 v[0:1], v[0:1], 3, v[12:13]
	global_load_dwordx2 v[8:9], v[0:1], off
	v_mul_f64 v[2:3], v[4:5], v[2:3]
                                        ; implicit-def: $vgpr12_vgpr13
                                        ; implicit-def: $vgpr4_vgpr5
                                        ; implicit-def: $vgpr14_vgpr15
	s_waitcnt vmcnt(0)
	v_fmac_f64_e32 v[2:3], v[6:7], v[8:9]
	global_store_dwordx2 v[0:1], v[2:3], off
                                        ; implicit-def: $vgpr0_vgpr1_vgpr2_vgpr3
                                        ; implicit-def: $vgpr8
.LBB14_46:
	s_andn2_saveexec_b64 s[0:1], s[0:1]
	s_cbranch_execz .LBB14_51
; %bb.47:
	v_mul_f64 v[0:1], v[4:5], v[2:3]
	s_and_b64 vcc, exec, s[2:3]
	s_mov_b64 s[0:1], -1
	s_cbranch_vccnz .LBB14_49
; %bb.48:
	v_lshl_add_u64 v[2:3], v[8:9], 3, v[14:15]
	s_mov_b64 s[0:1], 0
	global_store_dwordx2 v[2:3], v[0:1], off
.LBB14_49:
	s_andn2_b64 vcc, exec, s[0:1]
	s_cbranch_vccnz .LBB14_51
; %bb.50:
	v_mul_lo_u32 v4, s5, v8
	v_mul_lo_u32 v5, s4, v9
	v_mad_u64_u32 v[2:3], s[0:1], s4, v8, 0
	v_add3_u32 v3, v3, v5, v4
	v_lshl_add_u64 v[2:3], v[2:3], 3, v[12:13]
	global_store_dwordx2 v[2:3], v[0:1], off
.LBB14_51:
	s_endpgm
	.section	.rodata,"a",@progbits
	.p2align	6, 0x0
	.amdhsa_kernel _ZN9rocsparseL31bsrmm_large_blockdim_kernel_extILj16ELj16ELj2EiiddddEEvb20rocsparse_direction_T3_S2_llNS_24const_host_device_scalarIT7_EEPKT2_PKS2_PKT4_S2_PKT5_llS5_PT6_ll16rocsparse_order_21rocsparse_index_base_b
		.amdhsa_group_segment_fixed_size 6144
		.amdhsa_private_segment_fixed_size 0
		.amdhsa_kernarg_size 140
		.amdhsa_user_sgpr_count 2
		.amdhsa_user_sgpr_dispatch_ptr 0
		.amdhsa_user_sgpr_queue_ptr 0
		.amdhsa_user_sgpr_kernarg_segment_ptr 1
		.amdhsa_user_sgpr_dispatch_id 0
		.amdhsa_user_sgpr_kernarg_preload_length 0
		.amdhsa_user_sgpr_kernarg_preload_offset 0
		.amdhsa_user_sgpr_private_segment_size 0
		.amdhsa_uses_dynamic_stack 0
		.amdhsa_enable_private_segment 0
		.amdhsa_system_sgpr_workgroup_id_x 1
		.amdhsa_system_sgpr_workgroup_id_y 1
		.amdhsa_system_sgpr_workgroup_id_z 0
		.amdhsa_system_sgpr_workgroup_info 0
		.amdhsa_system_vgpr_workitem_id 1
		.amdhsa_next_free_vgpr 32
		.amdhsa_next_free_sgpr 36
		.amdhsa_accum_offset 32
		.amdhsa_reserve_vcc 1
		.amdhsa_float_round_mode_32 0
		.amdhsa_float_round_mode_16_64 0
		.amdhsa_float_denorm_mode_32 3
		.amdhsa_float_denorm_mode_16_64 3
		.amdhsa_dx10_clamp 1
		.amdhsa_ieee_mode 1
		.amdhsa_fp16_overflow 0
		.amdhsa_tg_split 0
		.amdhsa_exception_fp_ieee_invalid_op 0
		.amdhsa_exception_fp_denorm_src 0
		.amdhsa_exception_fp_ieee_div_zero 0
		.amdhsa_exception_fp_ieee_overflow 0
		.amdhsa_exception_fp_ieee_underflow 0
		.amdhsa_exception_fp_ieee_inexact 0
		.amdhsa_exception_int_div_zero 0
	.end_amdhsa_kernel
	.section	.text._ZN9rocsparseL31bsrmm_large_blockdim_kernel_extILj16ELj16ELj2EiiddddEEvb20rocsparse_direction_T3_S2_llNS_24const_host_device_scalarIT7_EEPKT2_PKS2_PKT4_S2_PKT5_llS5_PT6_ll16rocsparse_order_21rocsparse_index_base_b,"axG",@progbits,_ZN9rocsparseL31bsrmm_large_blockdim_kernel_extILj16ELj16ELj2EiiddddEEvb20rocsparse_direction_T3_S2_llNS_24const_host_device_scalarIT7_EEPKT2_PKS2_PKT4_S2_PKT5_llS5_PT6_ll16rocsparse_order_21rocsparse_index_base_b,comdat
.Lfunc_end14:
	.size	_ZN9rocsparseL31bsrmm_large_blockdim_kernel_extILj16ELj16ELj2EiiddddEEvb20rocsparse_direction_T3_S2_llNS_24const_host_device_scalarIT7_EEPKT2_PKS2_PKT4_S2_PKT5_llS5_PT6_ll16rocsparse_order_21rocsparse_index_base_b, .Lfunc_end14-_ZN9rocsparseL31bsrmm_large_blockdim_kernel_extILj16ELj16ELj2EiiddddEEvb20rocsparse_direction_T3_S2_llNS_24const_host_device_scalarIT7_EEPKT2_PKS2_PKT4_S2_PKT5_llS5_PT6_ll16rocsparse_order_21rocsparse_index_base_b
                                        ; -- End function
	.set _ZN9rocsparseL31bsrmm_large_blockdim_kernel_extILj16ELj16ELj2EiiddddEEvb20rocsparse_direction_T3_S2_llNS_24const_host_device_scalarIT7_EEPKT2_PKS2_PKT4_S2_PKT5_llS5_PT6_ll16rocsparse_order_21rocsparse_index_base_b.num_vgpr, 32
	.set _ZN9rocsparseL31bsrmm_large_blockdim_kernel_extILj16ELj16ELj2EiiddddEEvb20rocsparse_direction_T3_S2_llNS_24const_host_device_scalarIT7_EEPKT2_PKS2_PKT4_S2_PKT5_llS5_PT6_ll16rocsparse_order_21rocsparse_index_base_b.num_agpr, 0
	.set _ZN9rocsparseL31bsrmm_large_blockdim_kernel_extILj16ELj16ELj2EiiddddEEvb20rocsparse_direction_T3_S2_llNS_24const_host_device_scalarIT7_EEPKT2_PKS2_PKT4_S2_PKT5_llS5_PT6_ll16rocsparse_order_21rocsparse_index_base_b.numbered_sgpr, 36
	.set _ZN9rocsparseL31bsrmm_large_blockdim_kernel_extILj16ELj16ELj2EiiddddEEvb20rocsparse_direction_T3_S2_llNS_24const_host_device_scalarIT7_EEPKT2_PKS2_PKT4_S2_PKT5_llS5_PT6_ll16rocsparse_order_21rocsparse_index_base_b.num_named_barrier, 0
	.set _ZN9rocsparseL31bsrmm_large_blockdim_kernel_extILj16ELj16ELj2EiiddddEEvb20rocsparse_direction_T3_S2_llNS_24const_host_device_scalarIT7_EEPKT2_PKS2_PKT4_S2_PKT5_llS5_PT6_ll16rocsparse_order_21rocsparse_index_base_b.private_seg_size, 0
	.set _ZN9rocsparseL31bsrmm_large_blockdim_kernel_extILj16ELj16ELj2EiiddddEEvb20rocsparse_direction_T3_S2_llNS_24const_host_device_scalarIT7_EEPKT2_PKS2_PKT4_S2_PKT5_llS5_PT6_ll16rocsparse_order_21rocsparse_index_base_b.uses_vcc, 1
	.set _ZN9rocsparseL31bsrmm_large_blockdim_kernel_extILj16ELj16ELj2EiiddddEEvb20rocsparse_direction_T3_S2_llNS_24const_host_device_scalarIT7_EEPKT2_PKS2_PKT4_S2_PKT5_llS5_PT6_ll16rocsparse_order_21rocsparse_index_base_b.uses_flat_scratch, 0
	.set _ZN9rocsparseL31bsrmm_large_blockdim_kernel_extILj16ELj16ELj2EiiddddEEvb20rocsparse_direction_T3_S2_llNS_24const_host_device_scalarIT7_EEPKT2_PKS2_PKT4_S2_PKT5_llS5_PT6_ll16rocsparse_order_21rocsparse_index_base_b.has_dyn_sized_stack, 0
	.set _ZN9rocsparseL31bsrmm_large_blockdim_kernel_extILj16ELj16ELj2EiiddddEEvb20rocsparse_direction_T3_S2_llNS_24const_host_device_scalarIT7_EEPKT2_PKS2_PKT4_S2_PKT5_llS5_PT6_ll16rocsparse_order_21rocsparse_index_base_b.has_recursion, 0
	.set _ZN9rocsparseL31bsrmm_large_blockdim_kernel_extILj16ELj16ELj2EiiddddEEvb20rocsparse_direction_T3_S2_llNS_24const_host_device_scalarIT7_EEPKT2_PKS2_PKT4_S2_PKT5_llS5_PT6_ll16rocsparse_order_21rocsparse_index_base_b.has_indirect_call, 0
	.section	.AMDGPU.csdata,"",@progbits
; Kernel info:
; codeLenInByte = 1664
; TotalNumSgprs: 42
; NumVgprs: 32
; NumAgprs: 0
; TotalNumVgprs: 32
; ScratchSize: 0
; MemoryBound: 0
; FloatMode: 240
; IeeeMode: 1
; LDSByteSize: 6144 bytes/workgroup (compile time only)
; SGPRBlocks: 5
; VGPRBlocks: 3
; NumSGPRsForWavesPerEU: 42
; NumVGPRsForWavesPerEU: 32
; AccumOffset: 32
; Occupancy: 8
; WaveLimiterHint : 1
; COMPUTE_PGM_RSRC2:SCRATCH_EN: 0
; COMPUTE_PGM_RSRC2:USER_SGPR: 2
; COMPUTE_PGM_RSRC2:TRAP_HANDLER: 0
; COMPUTE_PGM_RSRC2:TGID_X_EN: 1
; COMPUTE_PGM_RSRC2:TGID_Y_EN: 1
; COMPUTE_PGM_RSRC2:TGID_Z_EN: 0
; COMPUTE_PGM_RSRC2:TIDIG_COMP_CNT: 1
; COMPUTE_PGM_RSRC3_GFX90A:ACCUM_OFFSET: 7
; COMPUTE_PGM_RSRC3_GFX90A:TG_SPLIT: 0
	.section	.text._ZN9rocsparseL31bsrmm_large_blockdim_kernel_extILj32ELj32ELj2EiiddddEEvb20rocsparse_direction_T3_S2_llNS_24const_host_device_scalarIT7_EEPKT2_PKS2_PKT4_S2_PKT5_llS5_PT6_ll16rocsparse_order_21rocsparse_index_base_b,"axG",@progbits,_ZN9rocsparseL31bsrmm_large_blockdim_kernel_extILj32ELj32ELj2EiiddddEEvb20rocsparse_direction_T3_S2_llNS_24const_host_device_scalarIT7_EEPKT2_PKS2_PKT4_S2_PKT5_llS5_PT6_ll16rocsparse_order_21rocsparse_index_base_b,comdat
	.globl	_ZN9rocsparseL31bsrmm_large_blockdim_kernel_extILj32ELj32ELj2EiiddddEEvb20rocsparse_direction_T3_S2_llNS_24const_host_device_scalarIT7_EEPKT2_PKS2_PKT4_S2_PKT5_llS5_PT6_ll16rocsparse_order_21rocsparse_index_base_b ; -- Begin function _ZN9rocsparseL31bsrmm_large_blockdim_kernel_extILj32ELj32ELj2EiiddddEEvb20rocsparse_direction_T3_S2_llNS_24const_host_device_scalarIT7_EEPKT2_PKS2_PKT4_S2_PKT5_llS5_PT6_ll16rocsparse_order_21rocsparse_index_base_b
	.p2align	8
	.type	_ZN9rocsparseL31bsrmm_large_blockdim_kernel_extILj32ELj32ELj2EiiddddEEvb20rocsparse_direction_T3_S2_llNS_24const_host_device_scalarIT7_EEPKT2_PKS2_PKT4_S2_PKT5_llS5_PT6_ll16rocsparse_order_21rocsparse_index_base_b,@function
_ZN9rocsparseL31bsrmm_large_blockdim_kernel_extILj32ELj32ELj2EiiddddEEvb20rocsparse_direction_T3_S2_llNS_24const_host_device_scalarIT7_EEPKT2_PKS2_PKT4_S2_PKT5_llS5_PT6_ll16rocsparse_order_21rocsparse_index_base_b: ; @_ZN9rocsparseL31bsrmm_large_blockdim_kernel_extILj32ELj32ELj2EiiddddEEvb20rocsparse_direction_T3_S2_llNS_24const_host_device_scalarIT7_EEPKT2_PKS2_PKT4_S2_PKT5_llS5_PT6_ll16rocsparse_order_21rocsparse_index_base_b
; %bb.0:
	s_load_dwordx4 s[16:19], s[0:1], 0x80
	s_load_dwordx2 s[10:11], s[0:1], 0x20
	s_load_dwordx2 s[6:7], s[0:1], 0x60
	s_mov_b32 s4, s3
	s_waitcnt lgkmcnt(0)
	s_bitcmp1_b32 s18, 0
	s_cselect_b64 s[12:13], -1, 0
	s_xor_b64 s[8:9], s[12:13], -1
	s_and_b64 vcc, exec, s[12:13]
	v_mov_b64_e32 v[4:5], s[10:11]
	s_cbranch_vccnz .LBB15_2
; %bb.1:
	v_mov_b64_e32 v[2:3], s[10:11]
	flat_load_dwordx2 v[4:5], v[2:3]
.LBB15_2:
	s_andn2_b64 vcc, exec, s[8:9]
	v_mov_b64_e32 v[6:7], s[6:7]
	s_cbranch_vccnz .LBB15_4
; %bb.3:
	v_mov_b64_e32 v[2:3], s[6:7]
	flat_load_dwordx2 v[6:7], v[2:3]
.LBB15_4:
	s_waitcnt vmcnt(0) lgkmcnt(0)
	v_cmp_neq_f64_e32 vcc, 0, v[4:5]
	v_cmp_neq_f64_e64 s[6:7], 1.0, v[6:7]
	s_or_b64 s[6:7], vcc, s[6:7]
	s_and_saveexec_b64 s[8:9], s[6:7]
	s_cbranch_execz .LBB15_51
; %bb.5:
	s_load_dwordx4 s[12:15], s[0:1], 0x0
	s_load_dwordx2 s[6:7], s[0:1], 0x28
	s_mov_b32 s33, 0
	s_mov_b32 s30, 0
	s_waitcnt lgkmcnt(0)
	s_cmp_lt_i32 s2, s14
	s_cselect_b64 s[18:19], -1, 0
	s_cmp_ge_i32 s2, s14
	s_cbranch_scc1 .LBB15_7
; %bb.6:
	s_ashr_i32 s3, s2, 31
	s_lshl_b64 s[8:9], s[2:3], 2
	s_add_u32 s8, s6, s8
	s_addc_u32 s9, s7, s9
	s_load_dword s3, s[8:9], 0x0
	s_waitcnt lgkmcnt(0)
	s_sub_i32 s30, s3, s17
.LBB15_7:
	s_andn2_b64 vcc, exec, s[18:19]
	s_cbranch_vccnz .LBB15_9
; %bb.8:
	s_ashr_i32 s3, s2, 31
	s_lshl_b64 s[8:9], s[2:3], 2
	s_add_u32 s6, s6, s8
	s_addc_u32 s7, s7, s9
	s_load_dword s3, s[6:7], 0x4
	s_waitcnt lgkmcnt(0)
	s_sub_i32 s33, s3, s17
.LBB15_9:
	s_load_dwordx2 s[28:29], s[0:1], 0x68
	s_load_dword s3, s[0:1], 0x40
	v_bfe_u32 v2, v0, 10, 10
	v_lshl_add_u32 v10, s4, 6, v2
	v_add_u32_e32 v8, 32, v10
	v_and_b32_e32 v12, 0x3ff, v0
	s_waitcnt lgkmcnt(0)
	v_cmp_gt_i32_e32 vcc, s3, v12
	s_cmp_ge_i32 s30, s33
	v_cmp_gt_i32_e64 s[4:5], s15, v10
	v_cmp_gt_i32_e64 s[6:7], s15, v8
	s_cbranch_scc1 .LBB15_27
; %bb.10:
	s_load_dwordx4 s[20:23], s[0:1], 0x30
	s_load_dwordx4 s[24:27], s[0:1], 0x48
	v_cmp_gt_i32_e64 s[8:9], s3, v2
	s_and_b64 s[34:35], vcc, s[8:9]
	s_bitcmp1_b32 s12, 0
	v_mov_b32_e32 v0, 0x4000
	v_lshlrev_b32_e32 v13, 8, v2
	s_cselect_b64 s[8:9], -1, 0
	v_lshl_or_b32 v18, v2, 3, v0
	s_cmp_eq_u32 s13, 0
	v_mad_u64_u32 v[0:1], s[10:11], s3, v2, v[12:13]
	v_mad_u64_u32 v[2:3], s[10:11], s3, v12, v[2:3]
	v_ashrrev_i32_e32 v11, 31, v10
	s_waitcnt lgkmcnt(0)
	v_mad_u64_u32 v[14:15], s[10:11], s26, v10, 0
	v_mad_u64_u32 v[16:17], s[10:11], s26, v8, 0
	v_mul_lo_u32 v1, s27, v10
	v_mul_lo_u32 v3, s26, v11
	v_ashrrev_i32_e32 v9, 31, v8
	s_cselect_b64 s[10:11], -1, 0
	v_lshlrev_b32_e32 v19, 3, v12
	v_lshlrev_b32_e32 v20, 8, v12
	v_add3_u32 v15, v15, v3, v1
	v_mul_lo_u32 v1, s27, v8
	v_mul_lo_u32 v3, s26, v9
	v_cndmask_b32_e64 v22, v0, v2, s[10:11]
	v_mov_b32_e32 v0, 0
	s_mul_i32 s14, s3, s3
	v_add3_u32 v17, v17, v3, v1
	v_add_u32_e32 v23, 0x4000, v20
	v_add_u32_e32 v24, 0x2000, v13
	v_mov_b32_e32 v1, v0
	v_mov_b32_e32 v2, v0
	;; [unrolled: 1-line block ×3, first 2 shown]
	v_add_u32_e32 v25, v19, v13
	v_add_u32_e32 v26, v18, v20
	s_branch .LBB15_13
.LBB15_11:                              ;   in Loop: Header=BB15_13 Depth=1
	s_or_b64 exec, exec, s[12:13]
.LBB15_12:                              ;   in Loop: Header=BB15_13 Depth=1
	s_or_b64 exec, exec, s[10:11]
	s_add_i32 s30, s30, 1
	s_cmp_ge_i32 s30, s33
	s_barrier
	s_cbranch_scc1 .LBB15_28
.LBB15_13:                              ; =>This Loop Header: Depth=1
                                        ;     Child Loop BB15_23 Depth 2
                                        ;     Child Loop BB15_26 Depth 2
	s_and_saveexec_b64 s[10:11], vcc
	s_cbranch_execz .LBB15_18
; %bb.14:                               ;   in Loop: Header=BB15_13 Depth=1
	s_ashr_i32 s31, s30, 31
	s_lshl_b64 s[12:13], s[30:31], 2
	s_add_u32 s12, s20, s12
	s_addc_u32 s13, s21, s13
	s_load_dword s12, s[12:13], 0x0
	s_waitcnt lgkmcnt(0)
	s_sub_i32 s12, s12, s17
	s_mul_i32 s12, s12, s3
	v_add_u32_e32 v20, s12, v12
	v_ashrrev_i32_e32 v21, 31, v20
	v_mul_lo_u32 v27, s27, v20
	v_mad_u64_u32 v[18:19], s[12:13], s26, v20, 0
	v_mul_lo_u32 v28, s26, v21
	v_add3_u32 v19, v19, v28, v27
	v_lshl_add_u64 v[18:19], v[18:19], 3, s[24:25]
	v_lshl_add_u64 v[20:21], v[20:21], 3, s[24:25]
	s_and_saveexec_b64 s[12:13], s[4:5]
	s_cbranch_execz .LBB15_16
; %bb.15:                               ;   in Loop: Header=BB15_13 Depth=1
	v_lshl_add_u64 v[28:29], v[10:11], 3, v[18:19]
	v_lshl_add_u64 v[30:31], v[14:15], 3, v[20:21]
	v_cndmask_b32_e64 v29, v29, v31, s[8:9]
	v_cndmask_b32_e64 v28, v28, v30, s[8:9]
	global_load_dwordx2 v[28:29], v[28:29], off
	s_waitcnt vmcnt(0)
	ds_write_b64 v25, v[28:29]
.LBB15_16:                              ;   in Loop: Header=BB15_13 Depth=1
	s_or_b64 exec, exec, s[12:13]
	s_and_b64 exec, exec, s[6:7]
	s_cbranch_execz .LBB15_18
; %bb.17:                               ;   in Loop: Header=BB15_13 Depth=1
	v_lshl_add_u64 v[20:21], v[16:17], 3, v[20:21]
	v_lshl_add_u64 v[18:19], v[8:9], 3, v[18:19]
	v_cndmask_b32_e64 v19, v19, v21, s[8:9]
	v_cndmask_b32_e64 v18, v18, v20, s[8:9]
	global_load_dwordx2 v[18:19], v[18:19], off
	s_waitcnt vmcnt(0)
	ds_write_b64 v25, v[18:19] offset:8192
.LBB15_18:                              ;   in Loop: Header=BB15_13 Depth=1
	s_or_b64 exec, exec, s[10:11]
	s_and_saveexec_b64 s[10:11], s[34:35]
	s_cbranch_execz .LBB15_20
; %bb.19:                               ;   in Loop: Header=BB15_13 Depth=1
	s_mul_i32 s12, s14, s30
	v_add_u32_e32 v18, s12, v22
	v_ashrrev_i32_e32 v19, 31, v18
	v_lshl_add_u64 v[18:19], v[18:19], 3, s[22:23]
	global_load_dwordx2 v[18:19], v[18:19], off
	s_waitcnt vmcnt(0)
	ds_write_b64 v26, v[18:19]
.LBB15_20:                              ;   in Loop: Header=BB15_13 Depth=1
	s_or_b64 exec, exec, s[10:11]
	s_waitcnt lgkmcnt(0)
	s_barrier
	s_and_saveexec_b64 s[10:11], vcc
	s_cbranch_execz .LBB15_12
; %bb.21:                               ;   in Loop: Header=BB15_13 Depth=1
	s_and_saveexec_b64 s[12:13], s[4:5]
	s_cbranch_execz .LBB15_24
; %bb.22:                               ;   in Loop: Header=BB15_13 Depth=1
	v_mov_b32_e32 v18, v23
	v_mov_b32_e32 v19, v13
	s_mov_b32 s31, s3
.LBB15_23:                              ;   Parent Loop BB15_13 Depth=1
                                        ; =>  This Inner Loop Header: Depth=2
	ds_read_b64 v[20:21], v18
	ds_read_b64 v[28:29], v19
	s_add_i32 s31, s31, -1
	v_add_u32_e32 v19, 8, v19
	v_add_u32_e32 v18, 8, v18
	s_cmp_lg_u32 s31, 0
	s_waitcnt lgkmcnt(0)
	v_fmac_f64_e32 v[0:1], v[20:21], v[28:29]
	s_cbranch_scc1 .LBB15_23
.LBB15_24:                              ;   in Loop: Header=BB15_13 Depth=1
	s_or_b64 exec, exec, s[12:13]
	s_and_saveexec_b64 s[12:13], s[6:7]
	s_cbranch_execz .LBB15_11
; %bb.25:                               ;   in Loop: Header=BB15_13 Depth=1
	v_mov_b32_e32 v18, v23
	s_mov_b32 s31, s3
	v_mov_b32_e32 v19, v24
.LBB15_26:                              ;   Parent Loop BB15_13 Depth=1
                                        ; =>  This Inner Loop Header: Depth=2
	ds_read_b64 v[20:21], v18
	ds_read_b64 v[28:29], v19
	s_add_i32 s31, s31, -1
	v_add_u32_e32 v19, 8, v19
	v_add_u32_e32 v18, 8, v18
	s_cmp_lg_u32 s31, 0
	s_waitcnt lgkmcnt(0)
	v_fmac_f64_e32 v[2:3], v[20:21], v[28:29]
	s_cbranch_scc1 .LBB15_26
	s_branch .LBB15_11
.LBB15_27:
	v_mov_b32_e32 v0, 0
	v_mov_b32_e32 v1, v0
	;; [unrolled: 1-line block ×4, first 2 shown]
.LBB15_28:
	s_and_b64 s[4:5], s[18:19], vcc
	s_and_b64 exec, exec, s[4:5]
	s_cbranch_execz .LBB15_51
; %bb.29:
	s_load_dwordx2 s[4:5], s[0:1], 0x70
	s_mul_i32 s2, s3, s2
	v_add_u32_e32 v12, s2, v12
	v_ashrrev_i32_e32 v13, 31, v12
	s_cmp_lg_u32 s16, 1
	s_waitcnt lgkmcnt(0)
	v_mul_lo_u32 v9, s4, v13
	v_mul_lo_u32 v11, s5, v12
	v_mad_u64_u32 v[14:15], s[6:7], s4, v12, 0
	v_add3_u32 v15, v15, v9, v11
	v_cmp_neq_f64_e64 s[0:1], 0, v[6:7]
	s_cselect_b64 s[2:3], -1, 0
	v_lshl_add_u64 v[14:15], v[14:15], 3, s[28:29]
	v_lshl_add_u64 v[12:13], v[12:13], 3, s[28:29]
	v_cmp_gt_i32_e32 vcc, s15, v10
	s_and_saveexec_b64 s[6:7], vcc
	s_cbranch_execz .LBB15_40
; %bb.30:
	v_ashrrev_i32_e32 v11, 31, v10
	s_and_saveexec_b64 s[8:9], s[0:1]
	s_xor_b64 s[8:9], exec, s[8:9]
	s_cbranch_execz .LBB15_35
; %bb.31:
	s_mov_b64 s[10:11], -1
	s_and_b64 vcc, exec, s[2:3]
	s_cbranch_vccz .LBB15_33
; %bb.32:
	v_lshl_add_u64 v[16:17], v[10:11], 3, v[14:15]
	global_load_dwordx2 v[18:19], v[16:17], off
	v_mul_f64 v[20:21], v[4:5], v[0:1]
	s_mov_b64 s[10:11], 0
	s_waitcnt vmcnt(0)
	v_fmac_f64_e32 v[20:21], v[6:7], v[18:19]
	global_store_dwordx2 v[16:17], v[20:21], off
.LBB15_33:
	s_andn2_b64 vcc, exec, s[10:11]
	s_cbranch_vccnz .LBB15_35
; %bb.34:
	v_mul_lo_u32 v9, s5, v10
	v_mul_lo_u32 v16, s4, v11
	v_mad_u64_u32 v[10:11], s[10:11], s4, v10, 0
	v_add3_u32 v11, v11, v16, v9
	v_lshl_add_u64 v[10:11], v[10:11], 3, v[12:13]
	global_load_dwordx2 v[16:17], v[10:11], off
	v_mul_f64 v[18:19], v[4:5], v[0:1]
	s_waitcnt vmcnt(0)
	v_fmac_f64_e32 v[18:19], v[6:7], v[16:17]
	global_store_dwordx2 v[10:11], v[18:19], off
                                        ; implicit-def: $vgpr10
.LBB15_35:
	s_andn2_saveexec_b64 s[8:9], s[8:9]
	s_cbranch_execz .LBB15_40
; %bb.36:
	v_mul_f64 v[0:1], v[4:5], v[0:1]
	s_mov_b64 s[8:9], -1
	s_and_b64 vcc, exec, s[2:3]
	s_cbranch_vccz .LBB15_38
; %bb.37:
	v_lshl_add_u64 v[16:17], v[10:11], 3, v[14:15]
	global_store_dwordx2 v[16:17], v[0:1], off
	s_mov_b64 s[8:9], 0
.LBB15_38:
	s_andn2_b64 vcc, exec, s[8:9]
	s_cbranch_vccnz .LBB15_40
; %bb.39:
	v_mul_lo_u32 v9, s5, v10
	v_mul_lo_u32 v16, s4, v11
	v_mad_u64_u32 v[10:11], s[8:9], s4, v10, 0
	v_add3_u32 v11, v11, v16, v9
	v_lshl_add_u64 v[10:11], v[10:11], 3, v[12:13]
	global_store_dwordx2 v[10:11], v[0:1], off
.LBB15_40:
	s_or_b64 exec, exec, s[6:7]
	v_cmp_gt_i32_e32 vcc, s15, v8
	s_and_b64 exec, exec, vcc
	s_cbranch_execz .LBB15_51
; %bb.41:
	v_cndmask_b32_e64 v0, 0, 1, s[2:3]
	v_ashrrev_i32_e32 v9, 31, v8
	v_cmp_ne_u32_e64 s[2:3], 1, v0
	s_and_saveexec_b64 s[6:7], s[0:1]
	s_xor_b64 s[0:1], exec, s[6:7]
	s_cbranch_execz .LBB15_46
; %bb.42:
	s_and_b64 vcc, exec, s[2:3]
	s_mov_b64 s[6:7], -1
	s_cbranch_vccnz .LBB15_44
; %bb.43:
	v_lshl_add_u64 v[0:1], v[8:9], 3, v[14:15]
	global_load_dwordx2 v[10:11], v[0:1], off
	v_mul_f64 v[14:15], v[4:5], v[2:3]
	s_mov_b64 s[6:7], 0
	s_waitcnt vmcnt(0)
	v_fmac_f64_e32 v[14:15], v[6:7], v[10:11]
	global_store_dwordx2 v[0:1], v[14:15], off
.LBB15_44:
	s_andn2_b64 vcc, exec, s[6:7]
                                        ; implicit-def: $vgpr14_vgpr15
	s_cbranch_vccnz .LBB15_46
; %bb.45:
	v_mul_lo_u32 v10, s5, v8
	v_mul_lo_u32 v9, s4, v9
	v_mad_u64_u32 v[0:1], s[6:7], s4, v8, 0
	v_add3_u32 v1, v1, v9, v10
	v_lshl_add_u64 v[0:1], v[0:1], 3, v[12:13]
	global_load_dwordx2 v[8:9], v[0:1], off
	v_mul_f64 v[2:3], v[4:5], v[2:3]
                                        ; implicit-def: $vgpr12_vgpr13
                                        ; implicit-def: $vgpr4_vgpr5
                                        ; implicit-def: $vgpr14_vgpr15
	s_waitcnt vmcnt(0)
	v_fmac_f64_e32 v[2:3], v[6:7], v[8:9]
	global_store_dwordx2 v[0:1], v[2:3], off
                                        ; implicit-def: $vgpr0_vgpr1_vgpr2_vgpr3
                                        ; implicit-def: $vgpr8
.LBB15_46:
	s_andn2_saveexec_b64 s[0:1], s[0:1]
	s_cbranch_execz .LBB15_51
; %bb.47:
	v_mul_f64 v[0:1], v[4:5], v[2:3]
	s_and_b64 vcc, exec, s[2:3]
	s_mov_b64 s[0:1], -1
	s_cbranch_vccnz .LBB15_49
; %bb.48:
	v_lshl_add_u64 v[2:3], v[8:9], 3, v[14:15]
	s_mov_b64 s[0:1], 0
	global_store_dwordx2 v[2:3], v[0:1], off
.LBB15_49:
	s_andn2_b64 vcc, exec, s[0:1]
	s_cbranch_vccnz .LBB15_51
; %bb.50:
	v_mul_lo_u32 v4, s5, v8
	v_mul_lo_u32 v5, s4, v9
	v_mad_u64_u32 v[2:3], s[0:1], s4, v8, 0
	v_add3_u32 v3, v3, v5, v4
	v_lshl_add_u64 v[2:3], v[2:3], 3, v[12:13]
	global_store_dwordx2 v[2:3], v[0:1], off
.LBB15_51:
	s_endpgm
	.section	.rodata,"a",@progbits
	.p2align	6, 0x0
	.amdhsa_kernel _ZN9rocsparseL31bsrmm_large_blockdim_kernel_extILj32ELj32ELj2EiiddddEEvb20rocsparse_direction_T3_S2_llNS_24const_host_device_scalarIT7_EEPKT2_PKS2_PKT4_S2_PKT5_llS5_PT6_ll16rocsparse_order_21rocsparse_index_base_b
		.amdhsa_group_segment_fixed_size 24576
		.amdhsa_private_segment_fixed_size 0
		.amdhsa_kernarg_size 140
		.amdhsa_user_sgpr_count 2
		.amdhsa_user_sgpr_dispatch_ptr 0
		.amdhsa_user_sgpr_queue_ptr 0
		.amdhsa_user_sgpr_kernarg_segment_ptr 1
		.amdhsa_user_sgpr_dispatch_id 0
		.amdhsa_user_sgpr_kernarg_preload_length 0
		.amdhsa_user_sgpr_kernarg_preload_offset 0
		.amdhsa_user_sgpr_private_segment_size 0
		.amdhsa_uses_dynamic_stack 0
		.amdhsa_enable_private_segment 0
		.amdhsa_system_sgpr_workgroup_id_x 1
		.amdhsa_system_sgpr_workgroup_id_y 1
		.amdhsa_system_sgpr_workgroup_id_z 0
		.amdhsa_system_sgpr_workgroup_info 0
		.amdhsa_system_vgpr_workitem_id 1
		.amdhsa_next_free_vgpr 32
		.amdhsa_next_free_sgpr 36
		.amdhsa_accum_offset 32
		.amdhsa_reserve_vcc 1
		.amdhsa_float_round_mode_32 0
		.amdhsa_float_round_mode_16_64 0
		.amdhsa_float_denorm_mode_32 3
		.amdhsa_float_denorm_mode_16_64 3
		.amdhsa_dx10_clamp 1
		.amdhsa_ieee_mode 1
		.amdhsa_fp16_overflow 0
		.amdhsa_tg_split 0
		.amdhsa_exception_fp_ieee_invalid_op 0
		.amdhsa_exception_fp_denorm_src 0
		.amdhsa_exception_fp_ieee_div_zero 0
		.amdhsa_exception_fp_ieee_overflow 0
		.amdhsa_exception_fp_ieee_underflow 0
		.amdhsa_exception_fp_ieee_inexact 0
		.amdhsa_exception_int_div_zero 0
	.end_amdhsa_kernel
	.section	.text._ZN9rocsparseL31bsrmm_large_blockdim_kernel_extILj32ELj32ELj2EiiddddEEvb20rocsparse_direction_T3_S2_llNS_24const_host_device_scalarIT7_EEPKT2_PKS2_PKT4_S2_PKT5_llS5_PT6_ll16rocsparse_order_21rocsparse_index_base_b,"axG",@progbits,_ZN9rocsparseL31bsrmm_large_blockdim_kernel_extILj32ELj32ELj2EiiddddEEvb20rocsparse_direction_T3_S2_llNS_24const_host_device_scalarIT7_EEPKT2_PKS2_PKT4_S2_PKT5_llS5_PT6_ll16rocsparse_order_21rocsparse_index_base_b,comdat
.Lfunc_end15:
	.size	_ZN9rocsparseL31bsrmm_large_blockdim_kernel_extILj32ELj32ELj2EiiddddEEvb20rocsparse_direction_T3_S2_llNS_24const_host_device_scalarIT7_EEPKT2_PKS2_PKT4_S2_PKT5_llS5_PT6_ll16rocsparse_order_21rocsparse_index_base_b, .Lfunc_end15-_ZN9rocsparseL31bsrmm_large_blockdim_kernel_extILj32ELj32ELj2EiiddddEEvb20rocsparse_direction_T3_S2_llNS_24const_host_device_scalarIT7_EEPKT2_PKS2_PKT4_S2_PKT5_llS5_PT6_ll16rocsparse_order_21rocsparse_index_base_b
                                        ; -- End function
	.set _ZN9rocsparseL31bsrmm_large_blockdim_kernel_extILj32ELj32ELj2EiiddddEEvb20rocsparse_direction_T3_S2_llNS_24const_host_device_scalarIT7_EEPKT2_PKS2_PKT4_S2_PKT5_llS5_PT6_ll16rocsparse_order_21rocsparse_index_base_b.num_vgpr, 32
	.set _ZN9rocsparseL31bsrmm_large_blockdim_kernel_extILj32ELj32ELj2EiiddddEEvb20rocsparse_direction_T3_S2_llNS_24const_host_device_scalarIT7_EEPKT2_PKS2_PKT4_S2_PKT5_llS5_PT6_ll16rocsparse_order_21rocsparse_index_base_b.num_agpr, 0
	.set _ZN9rocsparseL31bsrmm_large_blockdim_kernel_extILj32ELj32ELj2EiiddddEEvb20rocsparse_direction_T3_S2_llNS_24const_host_device_scalarIT7_EEPKT2_PKS2_PKT4_S2_PKT5_llS5_PT6_ll16rocsparse_order_21rocsparse_index_base_b.numbered_sgpr, 36
	.set _ZN9rocsparseL31bsrmm_large_blockdim_kernel_extILj32ELj32ELj2EiiddddEEvb20rocsparse_direction_T3_S2_llNS_24const_host_device_scalarIT7_EEPKT2_PKS2_PKT4_S2_PKT5_llS5_PT6_ll16rocsparse_order_21rocsparse_index_base_b.num_named_barrier, 0
	.set _ZN9rocsparseL31bsrmm_large_blockdim_kernel_extILj32ELj32ELj2EiiddddEEvb20rocsparse_direction_T3_S2_llNS_24const_host_device_scalarIT7_EEPKT2_PKS2_PKT4_S2_PKT5_llS5_PT6_ll16rocsparse_order_21rocsparse_index_base_b.private_seg_size, 0
	.set _ZN9rocsparseL31bsrmm_large_blockdim_kernel_extILj32ELj32ELj2EiiddddEEvb20rocsparse_direction_T3_S2_llNS_24const_host_device_scalarIT7_EEPKT2_PKS2_PKT4_S2_PKT5_llS5_PT6_ll16rocsparse_order_21rocsparse_index_base_b.uses_vcc, 1
	.set _ZN9rocsparseL31bsrmm_large_blockdim_kernel_extILj32ELj32ELj2EiiddddEEvb20rocsparse_direction_T3_S2_llNS_24const_host_device_scalarIT7_EEPKT2_PKS2_PKT4_S2_PKT5_llS5_PT6_ll16rocsparse_order_21rocsparse_index_base_b.uses_flat_scratch, 0
	.set _ZN9rocsparseL31bsrmm_large_blockdim_kernel_extILj32ELj32ELj2EiiddddEEvb20rocsparse_direction_T3_S2_llNS_24const_host_device_scalarIT7_EEPKT2_PKS2_PKT4_S2_PKT5_llS5_PT6_ll16rocsparse_order_21rocsparse_index_base_b.has_dyn_sized_stack, 0
	.set _ZN9rocsparseL31bsrmm_large_blockdim_kernel_extILj32ELj32ELj2EiiddddEEvb20rocsparse_direction_T3_S2_llNS_24const_host_device_scalarIT7_EEPKT2_PKS2_PKT4_S2_PKT5_llS5_PT6_ll16rocsparse_order_21rocsparse_index_base_b.has_recursion, 0
	.set _ZN9rocsparseL31bsrmm_large_blockdim_kernel_extILj32ELj32ELj2EiiddddEEvb20rocsparse_direction_T3_S2_llNS_24const_host_device_scalarIT7_EEPKT2_PKS2_PKT4_S2_PKT5_llS5_PT6_ll16rocsparse_order_21rocsparse_index_base_b.has_indirect_call, 0
	.section	.AMDGPU.csdata,"",@progbits
; Kernel info:
; codeLenInByte = 1664
; TotalNumSgprs: 42
; NumVgprs: 32
; NumAgprs: 0
; TotalNumVgprs: 32
; ScratchSize: 0
; MemoryBound: 0
; FloatMode: 240
; IeeeMode: 1
; LDSByteSize: 24576 bytes/workgroup (compile time only)
; SGPRBlocks: 5
; VGPRBlocks: 3
; NumSGPRsForWavesPerEU: 42
; NumVGPRsForWavesPerEU: 32
; AccumOffset: 32
; Occupancy: 8
; WaveLimiterHint : 1
; COMPUTE_PGM_RSRC2:SCRATCH_EN: 0
; COMPUTE_PGM_RSRC2:USER_SGPR: 2
; COMPUTE_PGM_RSRC2:TRAP_HANDLER: 0
; COMPUTE_PGM_RSRC2:TGID_X_EN: 1
; COMPUTE_PGM_RSRC2:TGID_Y_EN: 1
; COMPUTE_PGM_RSRC2:TGID_Z_EN: 0
; COMPUTE_PGM_RSRC2:TIDIG_COMP_CNT: 1
; COMPUTE_PGM_RSRC3_GFX90A:ACCUM_OFFSET: 7
; COMPUTE_PGM_RSRC3_GFX90A:TG_SPLIT: 0
	.section	.text._ZN9rocsparseL31bsrmm_large_blockdim_kernel_extILj8ELj8ELj2EliddddEEvb20rocsparse_direction_T3_S2_llNS_24const_host_device_scalarIT7_EEPKT2_PKS2_PKT4_S2_PKT5_llS5_PT6_ll16rocsparse_order_21rocsparse_index_base_b,"axG",@progbits,_ZN9rocsparseL31bsrmm_large_blockdim_kernel_extILj8ELj8ELj2EliddddEEvb20rocsparse_direction_T3_S2_llNS_24const_host_device_scalarIT7_EEPKT2_PKS2_PKT4_S2_PKT5_llS5_PT6_ll16rocsparse_order_21rocsparse_index_base_b,comdat
	.globl	_ZN9rocsparseL31bsrmm_large_blockdim_kernel_extILj8ELj8ELj2EliddddEEvb20rocsparse_direction_T3_S2_llNS_24const_host_device_scalarIT7_EEPKT2_PKS2_PKT4_S2_PKT5_llS5_PT6_ll16rocsparse_order_21rocsparse_index_base_b ; -- Begin function _ZN9rocsparseL31bsrmm_large_blockdim_kernel_extILj8ELj8ELj2EliddddEEvb20rocsparse_direction_T3_S2_llNS_24const_host_device_scalarIT7_EEPKT2_PKS2_PKT4_S2_PKT5_llS5_PT6_ll16rocsparse_order_21rocsparse_index_base_b
	.p2align	8
	.type	_ZN9rocsparseL31bsrmm_large_blockdim_kernel_extILj8ELj8ELj2EliddddEEvb20rocsparse_direction_T3_S2_llNS_24const_host_device_scalarIT7_EEPKT2_PKS2_PKT4_S2_PKT5_llS5_PT6_ll16rocsparse_order_21rocsparse_index_base_b,@function
_ZN9rocsparseL31bsrmm_large_blockdim_kernel_extILj8ELj8ELj2EliddddEEvb20rocsparse_direction_T3_S2_llNS_24const_host_device_scalarIT7_EEPKT2_PKS2_PKT4_S2_PKT5_llS5_PT6_ll16rocsparse_order_21rocsparse_index_base_b: ; @_ZN9rocsparseL31bsrmm_large_blockdim_kernel_extILj8ELj8ELj2EliddddEEvb20rocsparse_direction_T3_S2_llNS_24const_host_device_scalarIT7_EEPKT2_PKS2_PKT4_S2_PKT5_llS5_PT6_ll16rocsparse_order_21rocsparse_index_base_b
; %bb.0:
	s_load_dwordx4 s[16:19], s[0:1], 0x80
	s_load_dwordx2 s[10:11], s[0:1], 0x20
	s_load_dwordx2 s[6:7], s[0:1], 0x60
	s_mov_b32 s4, s3
	s_waitcnt lgkmcnt(0)
	s_bitcmp1_b32 s18, 0
	s_cselect_b64 s[12:13], -1, 0
	s_xor_b64 s[8:9], s[12:13], -1
	s_and_b64 vcc, exec, s[12:13]
	v_mov_b64_e32 v[4:5], s[10:11]
	s_cbranch_vccnz .LBB16_2
; %bb.1:
	v_mov_b64_e32 v[2:3], s[10:11]
	flat_load_dwordx2 v[4:5], v[2:3]
.LBB16_2:
	s_andn2_b64 vcc, exec, s[8:9]
	v_mov_b64_e32 v[6:7], s[6:7]
	s_cbranch_vccnz .LBB16_4
; %bb.3:
	v_mov_b64_e32 v[2:3], s[6:7]
	flat_load_dwordx2 v[6:7], v[2:3]
.LBB16_4:
	s_waitcnt vmcnt(0) lgkmcnt(0)
	v_cmp_neq_f64_e32 vcc, 0, v[4:5]
	v_cmp_neq_f64_e64 s[6:7], 1.0, v[6:7]
	s_mov_b64 s[28:29], 0
	s_or_b64 s[6:7], vcc, s[6:7]
	s_and_saveexec_b64 s[8:9], s[6:7]
	s_cbranch_execz .LBB16_51
; %bb.5:
	s_load_dwordx4 s[12:15], s[0:1], 0x0
	s_load_dwordx2 s[6:7], s[0:1], 0x28
	s_waitcnt lgkmcnt(0)
	s_cmp_lt_i32 s2, s14
	s_cselect_b64 s[18:19], -1, 0
	s_cmp_ge_i32 s2, s14
	s_cbranch_scc1 .LBB16_7
; %bb.6:
	s_ashr_i32 s3, s2, 31
	s_lshl_b64 s[8:9], s[2:3], 3
	s_add_u32 s8, s6, s8
	s_addc_u32 s9, s7, s9
	s_load_dwordx2 s[8:9], s[8:9], 0x0
	s_waitcnt lgkmcnt(0)
	s_sub_u32 s28, s8, s17
	s_subb_u32 s29, s9, 0
.LBB16_7:
	s_andn2_b64 vcc, exec, s[18:19]
	s_mov_b64 s[34:35], 0
	s_cbranch_vccnz .LBB16_9
; %bb.8:
	s_ashr_i32 s3, s2, 31
	s_lshl_b64 s[8:9], s[2:3], 3
	s_add_u32 s6, s6, s8
	s_addc_u32 s7, s7, s9
	s_load_dwordx2 s[6:7], s[6:7], 0x8
	s_waitcnt lgkmcnt(0)
	s_sub_u32 s34, s6, s17
	s_subb_u32 s35, s7, 0
.LBB16_9:
	s_load_dwordx2 s[30:31], s[0:1], 0x68
	s_load_dword s3, s[0:1], 0x40
	v_bfe_u32 v1, v0, 10, 10
	v_lshl_add_u32 v10, s4, 4, v1
	v_mov_b64_e32 v[2:3], s[34:35]
	v_add_u32_e32 v8, 8, v10
	v_and_b32_e32 v22, 0x3ff, v0
	v_cmp_ge_i64_e32 vcc, s[28:29], v[2:3]
	s_waitcnt lgkmcnt(0)
	v_cmp_gt_i32_e64 s[4:5], s3, v22
	v_cmp_gt_i32_e64 s[6:7], s15, v10
	v_cmp_gt_i32_e64 s[8:9], s15, v8
	s_cbranch_vccnz .LBB16_27
; %bb.10:
	s_load_dwordx4 s[20:23], s[0:1], 0x30
	s_load_dwordx4 s[24:27], s[0:1], 0x48
	v_cmp_gt_i32_e32 vcc, s3, v1
	v_lshlrev_b32_e32 v2, 3, v1
	v_lshlrev_b32_e32 v23, 6, v1
	v_mul_lo_u32 v0, s3, v1
	v_mov_b32_e32 v1, 0
	s_and_b64 s[36:37], s[4:5], vcc
	v_lshlrev_b32_e32 v18, 3, v22
	s_waitcnt lgkmcnt(0)
	v_lshl_add_u64 v[12:13], v[0:1], 3, s[22:23]
	v_mov_b32_e32 v19, v1
	v_mul_lo_u32 v0, s3, v22
	s_bitcmp1_b32 s12, 0
	v_lshl_add_u64 v[16:17], v[12:13], 0, v[18:19]
	v_lshl_add_u64 v[12:13], v[0:1], 3, s[22:23]
	v_mov_b32_e32 v3, v1
	v_ashrrev_i32_e32 v11, 31, v10
	s_cselect_b64 s[10:11], -1, 0
	v_add_u32_e32 v20, 0x400, v2
	s_cmp_eq_u32 s13, 0
	v_lshl_add_u64 v[2:3], v[12:13], 0, v[2:3]
	v_mul_lo_u32 v0, s27, v10
	v_mul_lo_u32 v9, s26, v11
	v_mad_u64_u32 v[12:13], s[12:13], s26, v10, 0
	v_add3_u32 v13, v13, v9, v0
	v_ashrrev_i32_e32 v9, 31, v8
	v_lshlrev_b32_e32 v19, 6, v22
	v_mul_lo_u32 v0, s27, v8
	v_mul_lo_u32 v21, s26, v9
	v_mad_u64_u32 v[14:15], s[12:13], s26, v8, 0
	s_cselect_b64 vcc, -1, 0
	s_mul_i32 s14, s3, s3
	v_add3_u32 v15, v15, v21, v0
	v_cndmask_b32_e32 v17, v17, v3, vcc
	v_cndmask_b32_e32 v16, v16, v2, vcc
	v_add_u32_e32 v24, 0x400, v19
	v_add_u32_e32 v25, 0x200, v23
	v_mov_b32_e32 v0, v1
	v_mov_b32_e32 v2, v1
	;; [unrolled: 1-line block ×3, first 2 shown]
	v_add_u32_e32 v26, v20, v19
	v_add_u32_e32 v27, v18, v23
	s_branch .LBB16_13
.LBB16_11:                              ;   in Loop: Header=BB16_13 Depth=1
	s_or_b64 exec, exec, s[22:23]
.LBB16_12:                              ;   in Loop: Header=BB16_13 Depth=1
	s_or_b64 exec, exec, s[12:13]
	s_add_u32 s28, s28, 1
	s_addc_u32 s29, s29, 0
	v_mov_b64_e32 v[18:19], s[34:35]
	v_cmp_ge_i64_e32 vcc, s[28:29], v[18:19]
	; wave barrier
	s_cbranch_vccnz .LBB16_28
.LBB16_13:                              ; =>This Loop Header: Depth=1
                                        ;     Child Loop BB16_23 Depth 2
                                        ;     Child Loop BB16_26 Depth 2
	s_and_saveexec_b64 s[12:13], s[4:5]
	s_cbranch_execz .LBB16_18
; %bb.14:                               ;   in Loop: Header=BB16_13 Depth=1
	s_lshl_b64 s[22:23], s[28:29], 2
	s_add_u32 s22, s20, s22
	s_addc_u32 s23, s21, s23
	s_load_dword s22, s[22:23], 0x0
	s_waitcnt lgkmcnt(0)
	s_sub_i32 s22, s22, s17
	s_mul_i32 s22, s22, s3
	v_add_u32_e32 v20, s22, v22
	v_ashrrev_i32_e32 v21, 31, v20
	v_mul_lo_u32 v28, s27, v20
	v_mad_u64_u32 v[18:19], s[22:23], s26, v20, 0
	v_mul_lo_u32 v29, s26, v21
	v_add3_u32 v19, v19, v29, v28
	v_lshl_add_u64 v[18:19], v[18:19], 3, s[24:25]
	v_lshl_add_u64 v[20:21], v[20:21], 3, s[24:25]
	s_and_saveexec_b64 s[22:23], s[6:7]
	s_cbranch_execz .LBB16_16
; %bb.15:                               ;   in Loop: Header=BB16_13 Depth=1
	v_lshl_add_u64 v[28:29], v[10:11], 3, v[18:19]
	v_lshl_add_u64 v[30:31], v[12:13], 3, v[20:21]
	v_cndmask_b32_e64 v29, v29, v31, s[10:11]
	v_cndmask_b32_e64 v28, v28, v30, s[10:11]
	global_load_dwordx2 v[28:29], v[28:29], off
	s_waitcnt vmcnt(0)
	ds_write_b64 v27, v[28:29]
.LBB16_16:                              ;   in Loop: Header=BB16_13 Depth=1
	s_or_b64 exec, exec, s[22:23]
	s_and_b64 exec, exec, s[8:9]
	s_cbranch_execz .LBB16_18
; %bb.17:                               ;   in Loop: Header=BB16_13 Depth=1
	v_lshl_add_u64 v[20:21], v[14:15], 3, v[20:21]
	v_lshl_add_u64 v[18:19], v[8:9], 3, v[18:19]
	v_cndmask_b32_e64 v19, v19, v21, s[10:11]
	v_cndmask_b32_e64 v18, v18, v20, s[10:11]
	global_load_dwordx2 v[18:19], v[18:19], off
	s_waitcnt vmcnt(0)
	ds_write_b64 v27, v[18:19] offset:512
.LBB16_18:                              ;   in Loop: Header=BB16_13 Depth=1
	s_or_b64 exec, exec, s[12:13]
	s_and_saveexec_b64 s[12:13], s[36:37]
	s_cbranch_execz .LBB16_20
; %bb.19:                               ;   in Loop: Header=BB16_13 Depth=1
	s_mul_i32 s22, s29, s14
	s_mul_hi_u32 s23, s28, s14
	s_add_i32 s23, s23, s22
	s_mul_i32 s22, s28, s14
	v_lshl_add_u64 v[18:19], s[22:23], 3, v[16:17]
	global_load_dwordx2 v[18:19], v[18:19], off
	s_waitcnt vmcnt(0)
	ds_write_b64 v26, v[18:19]
.LBB16_20:                              ;   in Loop: Header=BB16_13 Depth=1
	s_or_b64 exec, exec, s[12:13]
	s_waitcnt lgkmcnt(0)
	; wave barrier
	s_and_saveexec_b64 s[12:13], s[4:5]
	s_cbranch_execz .LBB16_12
; %bb.21:                               ;   in Loop: Header=BB16_13 Depth=1
	s_and_saveexec_b64 s[22:23], s[6:7]
	s_cbranch_execz .LBB16_24
; %bb.22:                               ;   in Loop: Header=BB16_13 Depth=1
	v_mov_b32_e32 v18, v24
	v_mov_b32_e32 v19, v23
	s_mov_b32 s33, s3
.LBB16_23:                              ;   Parent Loop BB16_13 Depth=1
                                        ; =>  This Inner Loop Header: Depth=2
	ds_read_b64 v[20:21], v18
	ds_read_b64 v[28:29], v19
	s_add_i32 s33, s33, -1
	v_add_u32_e32 v19, 8, v19
	v_add_u32_e32 v18, 8, v18
	s_cmp_lg_u32 s33, 0
	s_waitcnt lgkmcnt(0)
	v_fmac_f64_e32 v[0:1], v[20:21], v[28:29]
	s_cbranch_scc1 .LBB16_23
.LBB16_24:                              ;   in Loop: Header=BB16_13 Depth=1
	s_or_b64 exec, exec, s[22:23]
	s_and_saveexec_b64 s[22:23], s[8:9]
	s_cbranch_execz .LBB16_11
; %bb.25:                               ;   in Loop: Header=BB16_13 Depth=1
	v_mov_b32_e32 v18, v24
	s_mov_b32 s33, s3
	v_mov_b32_e32 v19, v25
.LBB16_26:                              ;   Parent Loop BB16_13 Depth=1
                                        ; =>  This Inner Loop Header: Depth=2
	ds_read_b64 v[20:21], v18
	ds_read_b64 v[28:29], v19
	s_add_i32 s33, s33, -1
	v_add_u32_e32 v19, 8, v19
	v_add_u32_e32 v18, 8, v18
	s_cmp_lg_u32 s33, 0
	s_waitcnt lgkmcnt(0)
	v_fmac_f64_e32 v[2:3], v[20:21], v[28:29]
	s_cbranch_scc1 .LBB16_26
	s_branch .LBB16_11
.LBB16_27:
	v_mov_b32_e32 v0, 0
	v_mov_b32_e32 v1, v0
	;; [unrolled: 1-line block ×4, first 2 shown]
.LBB16_28:
	s_and_b64 s[4:5], s[18:19], s[4:5]
	s_and_b64 exec, exec, s[4:5]
	s_cbranch_execz .LBB16_51
; %bb.29:
	s_load_dwordx2 s[4:5], s[0:1], 0x70
	s_mul_i32 s2, s3, s2
	v_add_u32_e32 v12, s2, v22
	v_ashrrev_i32_e32 v13, 31, v12
	s_cmp_lg_u32 s16, 1
	s_waitcnt lgkmcnt(0)
	v_mul_lo_u32 v9, s4, v13
	v_mul_lo_u32 v11, s5, v12
	v_mad_u64_u32 v[14:15], s[6:7], s4, v12, 0
	v_add3_u32 v15, v15, v9, v11
	v_cmp_neq_f64_e64 s[0:1], 0, v[6:7]
	s_cselect_b64 s[2:3], -1, 0
	v_lshl_add_u64 v[14:15], v[14:15], 3, s[30:31]
	v_lshl_add_u64 v[12:13], v[12:13], 3, s[30:31]
	v_cmp_gt_i32_e32 vcc, s15, v10
	s_and_saveexec_b64 s[6:7], vcc
	s_cbranch_execz .LBB16_40
; %bb.30:
	v_ashrrev_i32_e32 v11, 31, v10
	s_and_saveexec_b64 s[8:9], s[0:1]
	s_xor_b64 s[8:9], exec, s[8:9]
	s_cbranch_execz .LBB16_35
; %bb.31:
	s_mov_b64 s[10:11], -1
	s_and_b64 vcc, exec, s[2:3]
	s_cbranch_vccz .LBB16_33
; %bb.32:
	v_lshl_add_u64 v[16:17], v[10:11], 3, v[14:15]
	global_load_dwordx2 v[18:19], v[16:17], off
	v_mul_f64 v[20:21], v[4:5], v[0:1]
	s_mov_b64 s[10:11], 0
	s_waitcnt vmcnt(0)
	v_fmac_f64_e32 v[20:21], v[6:7], v[18:19]
	global_store_dwordx2 v[16:17], v[20:21], off
.LBB16_33:
	s_andn2_b64 vcc, exec, s[10:11]
	s_cbranch_vccnz .LBB16_35
; %bb.34:
	v_mul_lo_u32 v9, s5, v10
	v_mul_lo_u32 v16, s4, v11
	v_mad_u64_u32 v[10:11], s[10:11], s4, v10, 0
	v_add3_u32 v11, v11, v16, v9
	v_lshl_add_u64 v[10:11], v[10:11], 3, v[12:13]
	global_load_dwordx2 v[16:17], v[10:11], off
	v_mul_f64 v[18:19], v[4:5], v[0:1]
	s_waitcnt vmcnt(0)
	v_fmac_f64_e32 v[18:19], v[6:7], v[16:17]
	global_store_dwordx2 v[10:11], v[18:19], off
                                        ; implicit-def: $vgpr10
.LBB16_35:
	s_andn2_saveexec_b64 s[8:9], s[8:9]
	s_cbranch_execz .LBB16_40
; %bb.36:
	v_mul_f64 v[0:1], v[4:5], v[0:1]
	s_mov_b64 s[8:9], -1
	s_and_b64 vcc, exec, s[2:3]
	s_cbranch_vccz .LBB16_38
; %bb.37:
	v_lshl_add_u64 v[16:17], v[10:11], 3, v[14:15]
	global_store_dwordx2 v[16:17], v[0:1], off
	s_mov_b64 s[8:9], 0
.LBB16_38:
	s_andn2_b64 vcc, exec, s[8:9]
	s_cbranch_vccnz .LBB16_40
; %bb.39:
	v_mul_lo_u32 v9, s5, v10
	v_mul_lo_u32 v16, s4, v11
	v_mad_u64_u32 v[10:11], s[8:9], s4, v10, 0
	v_add3_u32 v11, v11, v16, v9
	v_lshl_add_u64 v[10:11], v[10:11], 3, v[12:13]
	global_store_dwordx2 v[10:11], v[0:1], off
.LBB16_40:
	s_or_b64 exec, exec, s[6:7]
	v_cmp_gt_i32_e32 vcc, s15, v8
	s_and_b64 exec, exec, vcc
	s_cbranch_execz .LBB16_51
; %bb.41:
	v_cndmask_b32_e64 v0, 0, 1, s[2:3]
	v_ashrrev_i32_e32 v9, 31, v8
	v_cmp_ne_u32_e64 s[2:3], 1, v0
	s_and_saveexec_b64 s[6:7], s[0:1]
	s_xor_b64 s[0:1], exec, s[6:7]
	s_cbranch_execz .LBB16_46
; %bb.42:
	s_and_b64 vcc, exec, s[2:3]
	s_mov_b64 s[6:7], -1
	s_cbranch_vccnz .LBB16_44
; %bb.43:
	v_lshl_add_u64 v[0:1], v[8:9], 3, v[14:15]
	global_load_dwordx2 v[10:11], v[0:1], off
	v_mul_f64 v[14:15], v[4:5], v[2:3]
	s_mov_b64 s[6:7], 0
	s_waitcnt vmcnt(0)
	v_fmac_f64_e32 v[14:15], v[6:7], v[10:11]
	global_store_dwordx2 v[0:1], v[14:15], off
.LBB16_44:
	s_andn2_b64 vcc, exec, s[6:7]
                                        ; implicit-def: $vgpr14_vgpr15
	s_cbranch_vccnz .LBB16_46
; %bb.45:
	v_mul_lo_u32 v10, s5, v8
	v_mul_lo_u32 v9, s4, v9
	v_mad_u64_u32 v[0:1], s[6:7], s4, v8, 0
	v_add3_u32 v1, v1, v9, v10
	v_lshl_add_u64 v[0:1], v[0:1], 3, v[12:13]
	global_load_dwordx2 v[8:9], v[0:1], off
	v_mul_f64 v[2:3], v[4:5], v[2:3]
                                        ; implicit-def: $vgpr12_vgpr13
                                        ; implicit-def: $vgpr4_vgpr5
                                        ; implicit-def: $vgpr14_vgpr15
	s_waitcnt vmcnt(0)
	v_fmac_f64_e32 v[2:3], v[6:7], v[8:9]
	global_store_dwordx2 v[0:1], v[2:3], off
                                        ; implicit-def: $vgpr0_vgpr1_vgpr2_vgpr3
                                        ; implicit-def: $vgpr8
.LBB16_46:
	s_andn2_saveexec_b64 s[0:1], s[0:1]
	s_cbranch_execz .LBB16_51
; %bb.47:
	v_mul_f64 v[0:1], v[4:5], v[2:3]
	s_and_b64 vcc, exec, s[2:3]
	s_mov_b64 s[0:1], -1
	s_cbranch_vccnz .LBB16_49
; %bb.48:
	v_lshl_add_u64 v[2:3], v[8:9], 3, v[14:15]
	s_mov_b64 s[0:1], 0
	global_store_dwordx2 v[2:3], v[0:1], off
.LBB16_49:
	s_andn2_b64 vcc, exec, s[0:1]
	s_cbranch_vccnz .LBB16_51
; %bb.50:
	v_mul_lo_u32 v4, s5, v8
	v_mul_lo_u32 v5, s4, v9
	v_mad_u64_u32 v[2:3], s[0:1], s4, v8, 0
	v_add3_u32 v3, v3, v5, v4
	v_lshl_add_u64 v[2:3], v[2:3], 3, v[12:13]
	global_store_dwordx2 v[2:3], v[0:1], off
.LBB16_51:
	s_endpgm
	.section	.rodata,"a",@progbits
	.p2align	6, 0x0
	.amdhsa_kernel _ZN9rocsparseL31bsrmm_large_blockdim_kernel_extILj8ELj8ELj2EliddddEEvb20rocsparse_direction_T3_S2_llNS_24const_host_device_scalarIT7_EEPKT2_PKS2_PKT4_S2_PKT5_llS5_PT6_ll16rocsparse_order_21rocsparse_index_base_b
		.amdhsa_group_segment_fixed_size 1536
		.amdhsa_private_segment_fixed_size 0
		.amdhsa_kernarg_size 140
		.amdhsa_user_sgpr_count 2
		.amdhsa_user_sgpr_dispatch_ptr 0
		.amdhsa_user_sgpr_queue_ptr 0
		.amdhsa_user_sgpr_kernarg_segment_ptr 1
		.amdhsa_user_sgpr_dispatch_id 0
		.amdhsa_user_sgpr_kernarg_preload_length 0
		.amdhsa_user_sgpr_kernarg_preload_offset 0
		.amdhsa_user_sgpr_private_segment_size 0
		.amdhsa_uses_dynamic_stack 0
		.amdhsa_enable_private_segment 0
		.amdhsa_system_sgpr_workgroup_id_x 1
		.amdhsa_system_sgpr_workgroup_id_y 1
		.amdhsa_system_sgpr_workgroup_id_z 0
		.amdhsa_system_sgpr_workgroup_info 0
		.amdhsa_system_vgpr_workitem_id 1
		.amdhsa_next_free_vgpr 32
		.amdhsa_next_free_sgpr 38
		.amdhsa_accum_offset 32
		.amdhsa_reserve_vcc 1
		.amdhsa_float_round_mode_32 0
		.amdhsa_float_round_mode_16_64 0
		.amdhsa_float_denorm_mode_32 3
		.amdhsa_float_denorm_mode_16_64 3
		.amdhsa_dx10_clamp 1
		.amdhsa_ieee_mode 1
		.amdhsa_fp16_overflow 0
		.amdhsa_tg_split 0
		.amdhsa_exception_fp_ieee_invalid_op 0
		.amdhsa_exception_fp_denorm_src 0
		.amdhsa_exception_fp_ieee_div_zero 0
		.amdhsa_exception_fp_ieee_overflow 0
		.amdhsa_exception_fp_ieee_underflow 0
		.amdhsa_exception_fp_ieee_inexact 0
		.amdhsa_exception_int_div_zero 0
	.end_amdhsa_kernel
	.section	.text._ZN9rocsparseL31bsrmm_large_blockdim_kernel_extILj8ELj8ELj2EliddddEEvb20rocsparse_direction_T3_S2_llNS_24const_host_device_scalarIT7_EEPKT2_PKS2_PKT4_S2_PKT5_llS5_PT6_ll16rocsparse_order_21rocsparse_index_base_b,"axG",@progbits,_ZN9rocsparseL31bsrmm_large_blockdim_kernel_extILj8ELj8ELj2EliddddEEvb20rocsparse_direction_T3_S2_llNS_24const_host_device_scalarIT7_EEPKT2_PKS2_PKT4_S2_PKT5_llS5_PT6_ll16rocsparse_order_21rocsparse_index_base_b,comdat
.Lfunc_end16:
	.size	_ZN9rocsparseL31bsrmm_large_blockdim_kernel_extILj8ELj8ELj2EliddddEEvb20rocsparse_direction_T3_S2_llNS_24const_host_device_scalarIT7_EEPKT2_PKS2_PKT4_S2_PKT5_llS5_PT6_ll16rocsparse_order_21rocsparse_index_base_b, .Lfunc_end16-_ZN9rocsparseL31bsrmm_large_blockdim_kernel_extILj8ELj8ELj2EliddddEEvb20rocsparse_direction_T3_S2_llNS_24const_host_device_scalarIT7_EEPKT2_PKS2_PKT4_S2_PKT5_llS5_PT6_ll16rocsparse_order_21rocsparse_index_base_b
                                        ; -- End function
	.set _ZN9rocsparseL31bsrmm_large_blockdim_kernel_extILj8ELj8ELj2EliddddEEvb20rocsparse_direction_T3_S2_llNS_24const_host_device_scalarIT7_EEPKT2_PKS2_PKT4_S2_PKT5_llS5_PT6_ll16rocsparse_order_21rocsparse_index_base_b.num_vgpr, 32
	.set _ZN9rocsparseL31bsrmm_large_blockdim_kernel_extILj8ELj8ELj2EliddddEEvb20rocsparse_direction_T3_S2_llNS_24const_host_device_scalarIT7_EEPKT2_PKS2_PKT4_S2_PKT5_llS5_PT6_ll16rocsparse_order_21rocsparse_index_base_b.num_agpr, 0
	.set _ZN9rocsparseL31bsrmm_large_blockdim_kernel_extILj8ELj8ELj2EliddddEEvb20rocsparse_direction_T3_S2_llNS_24const_host_device_scalarIT7_EEPKT2_PKS2_PKT4_S2_PKT5_llS5_PT6_ll16rocsparse_order_21rocsparse_index_base_b.numbered_sgpr, 38
	.set _ZN9rocsparseL31bsrmm_large_blockdim_kernel_extILj8ELj8ELj2EliddddEEvb20rocsparse_direction_T3_S2_llNS_24const_host_device_scalarIT7_EEPKT2_PKS2_PKT4_S2_PKT5_llS5_PT6_ll16rocsparse_order_21rocsparse_index_base_b.num_named_barrier, 0
	.set _ZN9rocsparseL31bsrmm_large_blockdim_kernel_extILj8ELj8ELj2EliddddEEvb20rocsparse_direction_T3_S2_llNS_24const_host_device_scalarIT7_EEPKT2_PKS2_PKT4_S2_PKT5_llS5_PT6_ll16rocsparse_order_21rocsparse_index_base_b.private_seg_size, 0
	.set _ZN9rocsparseL31bsrmm_large_blockdim_kernel_extILj8ELj8ELj2EliddddEEvb20rocsparse_direction_T3_S2_llNS_24const_host_device_scalarIT7_EEPKT2_PKS2_PKT4_S2_PKT5_llS5_PT6_ll16rocsparse_order_21rocsparse_index_base_b.uses_vcc, 1
	.set _ZN9rocsparseL31bsrmm_large_blockdim_kernel_extILj8ELj8ELj2EliddddEEvb20rocsparse_direction_T3_S2_llNS_24const_host_device_scalarIT7_EEPKT2_PKS2_PKT4_S2_PKT5_llS5_PT6_ll16rocsparse_order_21rocsparse_index_base_b.uses_flat_scratch, 0
	.set _ZN9rocsparseL31bsrmm_large_blockdim_kernel_extILj8ELj8ELj2EliddddEEvb20rocsparse_direction_T3_S2_llNS_24const_host_device_scalarIT7_EEPKT2_PKS2_PKT4_S2_PKT5_llS5_PT6_ll16rocsparse_order_21rocsparse_index_base_b.has_dyn_sized_stack, 0
	.set _ZN9rocsparseL31bsrmm_large_blockdim_kernel_extILj8ELj8ELj2EliddddEEvb20rocsparse_direction_T3_S2_llNS_24const_host_device_scalarIT7_EEPKT2_PKS2_PKT4_S2_PKT5_llS5_PT6_ll16rocsparse_order_21rocsparse_index_base_b.has_recursion, 0
	.set _ZN9rocsparseL31bsrmm_large_blockdim_kernel_extILj8ELj8ELj2EliddddEEvb20rocsparse_direction_T3_S2_llNS_24const_host_device_scalarIT7_EEPKT2_PKS2_PKT4_S2_PKT5_llS5_PT6_ll16rocsparse_order_21rocsparse_index_base_b.has_indirect_call, 0
	.section	.AMDGPU.csdata,"",@progbits
; Kernel info:
; codeLenInByte = 1712
; TotalNumSgprs: 44
; NumVgprs: 32
; NumAgprs: 0
; TotalNumVgprs: 32
; ScratchSize: 0
; MemoryBound: 0
; FloatMode: 240
; IeeeMode: 1
; LDSByteSize: 1536 bytes/workgroup (compile time only)
; SGPRBlocks: 5
; VGPRBlocks: 3
; NumSGPRsForWavesPerEU: 44
; NumVGPRsForWavesPerEU: 32
; AccumOffset: 32
; Occupancy: 8
; WaveLimiterHint : 1
; COMPUTE_PGM_RSRC2:SCRATCH_EN: 0
; COMPUTE_PGM_RSRC2:USER_SGPR: 2
; COMPUTE_PGM_RSRC2:TRAP_HANDLER: 0
; COMPUTE_PGM_RSRC2:TGID_X_EN: 1
; COMPUTE_PGM_RSRC2:TGID_Y_EN: 1
; COMPUTE_PGM_RSRC2:TGID_Z_EN: 0
; COMPUTE_PGM_RSRC2:TIDIG_COMP_CNT: 1
; COMPUTE_PGM_RSRC3_GFX90A:ACCUM_OFFSET: 7
; COMPUTE_PGM_RSRC3_GFX90A:TG_SPLIT: 0
	.section	.text._ZN9rocsparseL31bsrmm_large_blockdim_kernel_extILj4ELj16ELj2EliddddEEvb20rocsparse_direction_T3_S2_llNS_24const_host_device_scalarIT7_EEPKT2_PKS2_PKT4_S2_PKT5_llS5_PT6_ll16rocsparse_order_21rocsparse_index_base_b,"axG",@progbits,_ZN9rocsparseL31bsrmm_large_blockdim_kernel_extILj4ELj16ELj2EliddddEEvb20rocsparse_direction_T3_S2_llNS_24const_host_device_scalarIT7_EEPKT2_PKS2_PKT4_S2_PKT5_llS5_PT6_ll16rocsparse_order_21rocsparse_index_base_b,comdat
	.globl	_ZN9rocsparseL31bsrmm_large_blockdim_kernel_extILj4ELj16ELj2EliddddEEvb20rocsparse_direction_T3_S2_llNS_24const_host_device_scalarIT7_EEPKT2_PKS2_PKT4_S2_PKT5_llS5_PT6_ll16rocsparse_order_21rocsparse_index_base_b ; -- Begin function _ZN9rocsparseL31bsrmm_large_blockdim_kernel_extILj4ELj16ELj2EliddddEEvb20rocsparse_direction_T3_S2_llNS_24const_host_device_scalarIT7_EEPKT2_PKS2_PKT4_S2_PKT5_llS5_PT6_ll16rocsparse_order_21rocsparse_index_base_b
	.p2align	8
	.type	_ZN9rocsparseL31bsrmm_large_blockdim_kernel_extILj4ELj16ELj2EliddddEEvb20rocsparse_direction_T3_S2_llNS_24const_host_device_scalarIT7_EEPKT2_PKS2_PKT4_S2_PKT5_llS5_PT6_ll16rocsparse_order_21rocsparse_index_base_b,@function
_ZN9rocsparseL31bsrmm_large_blockdim_kernel_extILj4ELj16ELj2EliddddEEvb20rocsparse_direction_T3_S2_llNS_24const_host_device_scalarIT7_EEPKT2_PKS2_PKT4_S2_PKT5_llS5_PT6_ll16rocsparse_order_21rocsparse_index_base_b: ; @_ZN9rocsparseL31bsrmm_large_blockdim_kernel_extILj4ELj16ELj2EliddddEEvb20rocsparse_direction_T3_S2_llNS_24const_host_device_scalarIT7_EEPKT2_PKS2_PKT4_S2_PKT5_llS5_PT6_ll16rocsparse_order_21rocsparse_index_base_b
; %bb.0:
	s_load_dwordx4 s[16:19], s[0:1], 0x80
	s_load_dwordx2 s[10:11], s[0:1], 0x20
	s_load_dwordx2 s[6:7], s[0:1], 0x60
	s_mov_b32 s4, s3
	s_waitcnt lgkmcnt(0)
	s_bitcmp1_b32 s18, 0
	s_cselect_b64 s[12:13], -1, 0
	s_xor_b64 s[8:9], s[12:13], -1
	s_and_b64 vcc, exec, s[12:13]
	v_mov_b64_e32 v[4:5], s[10:11]
	s_cbranch_vccnz .LBB17_2
; %bb.1:
	v_mov_b64_e32 v[2:3], s[10:11]
	flat_load_dwordx2 v[4:5], v[2:3]
.LBB17_2:
	s_andn2_b64 vcc, exec, s[8:9]
	v_mov_b64_e32 v[6:7], s[6:7]
	s_cbranch_vccnz .LBB17_4
; %bb.3:
	v_mov_b64_e32 v[2:3], s[6:7]
	flat_load_dwordx2 v[6:7], v[2:3]
.LBB17_4:
	s_waitcnt vmcnt(0) lgkmcnt(0)
	v_cmp_neq_f64_e32 vcc, 0, v[4:5]
	v_cmp_neq_f64_e64 s[6:7], 1.0, v[6:7]
	s_mov_b64 s[28:29], 0
	s_or_b64 s[6:7], vcc, s[6:7]
	s_and_saveexec_b64 s[8:9], s[6:7]
	s_cbranch_execz .LBB17_51
; %bb.5:
	s_load_dwordx4 s[12:15], s[0:1], 0x0
	s_load_dwordx2 s[6:7], s[0:1], 0x28
	s_waitcnt lgkmcnt(0)
	s_cmp_lt_i32 s2, s14
	s_cselect_b64 s[18:19], -1, 0
	s_cmp_ge_i32 s2, s14
	s_cbranch_scc1 .LBB17_7
; %bb.6:
	s_ashr_i32 s3, s2, 31
	s_lshl_b64 s[8:9], s[2:3], 3
	s_add_u32 s8, s6, s8
	s_addc_u32 s9, s7, s9
	s_load_dwordx2 s[8:9], s[8:9], 0x0
	s_waitcnt lgkmcnt(0)
	s_sub_u32 s28, s8, s17
	s_subb_u32 s29, s9, 0
.LBB17_7:
	s_andn2_b64 vcc, exec, s[18:19]
	s_mov_b64 s[34:35], 0
	s_cbranch_vccnz .LBB17_9
; %bb.8:
	s_ashr_i32 s3, s2, 31
	s_lshl_b64 s[8:9], s[2:3], 3
	s_add_u32 s6, s6, s8
	s_addc_u32 s7, s7, s9
	s_load_dwordx2 s[6:7], s[6:7], 0x8
	s_waitcnt lgkmcnt(0)
	s_sub_u32 s34, s6, s17
	s_subb_u32 s35, s7, 0
.LBB17_9:
	s_load_dwordx2 s[30:31], s[0:1], 0x68
	s_load_dword s3, s[0:1], 0x40
	v_bfe_u32 v1, v0, 10, 10
	v_lshl_add_u32 v10, s4, 5, v1
	v_mov_b64_e32 v[2:3], s[34:35]
	v_add_u32_e32 v8, 16, v10
	v_and_b32_e32 v22, 0x3ff, v0
	v_cmp_ge_i64_e32 vcc, s[28:29], v[2:3]
	s_waitcnt lgkmcnt(0)
	v_cmp_gt_i32_e64 s[4:5], s3, v22
	v_cmp_gt_i32_e64 s[6:7], s15, v10
	v_cmp_gt_i32_e64 s[8:9], s15, v8
	s_cbranch_vccnz .LBB17_27
; %bb.10:
	s_load_dwordx4 s[20:23], s[0:1], 0x30
	s_load_dwordx4 s[24:27], s[0:1], 0x48
	v_cmp_gt_i32_e32 vcc, s3, v1
	v_lshlrev_b32_e32 v2, 3, v1
	v_lshlrev_b32_e32 v23, 5, v1
	v_mul_lo_u32 v0, s3, v1
	v_mov_b32_e32 v1, 0
	s_and_b64 s[36:37], s[4:5], vcc
	v_lshlrev_b32_e32 v18, 3, v22
	s_waitcnt lgkmcnt(0)
	v_lshl_add_u64 v[12:13], v[0:1], 3, s[22:23]
	v_mov_b32_e32 v19, v1
	v_mul_lo_u32 v0, s3, v22
	s_bitcmp1_b32 s12, 0
	v_lshl_add_u64 v[16:17], v[12:13], 0, v[18:19]
	v_lshl_add_u64 v[12:13], v[0:1], 3, s[22:23]
	v_mov_b32_e32 v3, v1
	v_ashrrev_i32_e32 v11, 31, v10
	s_cselect_b64 s[10:11], -1, 0
	v_add_u32_e32 v20, 0x400, v2
	s_cmp_eq_u32 s13, 0
	v_lshl_add_u64 v[2:3], v[12:13], 0, v[2:3]
	v_mul_lo_u32 v0, s27, v10
	v_mul_lo_u32 v9, s26, v11
	v_mad_u64_u32 v[12:13], s[12:13], s26, v10, 0
	v_add3_u32 v13, v13, v9, v0
	v_ashrrev_i32_e32 v9, 31, v8
	v_lshlrev_b32_e32 v19, 5, v22
	v_mul_lo_u32 v0, s27, v8
	v_mul_lo_u32 v21, s26, v9
	v_mad_u64_u32 v[14:15], s[12:13], s26, v8, 0
	s_cselect_b64 vcc, -1, 0
	s_mul_i32 s14, s3, s3
	v_add3_u32 v15, v15, v21, v0
	v_cndmask_b32_e32 v17, v17, v3, vcc
	v_cndmask_b32_e32 v16, v16, v2, vcc
	v_add_u32_e32 v24, 0x400, v19
	v_add_u32_e32 v25, 0x200, v23
	v_mov_b32_e32 v0, v1
	v_mov_b32_e32 v2, v1
	v_mov_b32_e32 v3, v1
	v_add_u32_e32 v26, v20, v19
	v_add_u32_e32 v27, v18, v23
	s_branch .LBB17_13
.LBB17_11:                              ;   in Loop: Header=BB17_13 Depth=1
	s_or_b64 exec, exec, s[22:23]
.LBB17_12:                              ;   in Loop: Header=BB17_13 Depth=1
	s_or_b64 exec, exec, s[12:13]
	s_add_u32 s28, s28, 1
	s_addc_u32 s29, s29, 0
	v_mov_b64_e32 v[18:19], s[34:35]
	v_cmp_ge_i64_e32 vcc, s[28:29], v[18:19]
	; wave barrier
	s_cbranch_vccnz .LBB17_28
.LBB17_13:                              ; =>This Loop Header: Depth=1
                                        ;     Child Loop BB17_23 Depth 2
                                        ;     Child Loop BB17_26 Depth 2
	s_and_saveexec_b64 s[12:13], s[4:5]
	s_cbranch_execz .LBB17_18
; %bb.14:                               ;   in Loop: Header=BB17_13 Depth=1
	s_lshl_b64 s[22:23], s[28:29], 2
	s_add_u32 s22, s20, s22
	s_addc_u32 s23, s21, s23
	s_load_dword s22, s[22:23], 0x0
	s_waitcnt lgkmcnt(0)
	s_sub_i32 s22, s22, s17
	s_mul_i32 s22, s22, s3
	v_add_u32_e32 v20, s22, v22
	v_ashrrev_i32_e32 v21, 31, v20
	v_mul_lo_u32 v28, s27, v20
	v_mad_u64_u32 v[18:19], s[22:23], s26, v20, 0
	v_mul_lo_u32 v29, s26, v21
	v_add3_u32 v19, v19, v29, v28
	v_lshl_add_u64 v[18:19], v[18:19], 3, s[24:25]
	v_lshl_add_u64 v[20:21], v[20:21], 3, s[24:25]
	s_and_saveexec_b64 s[22:23], s[6:7]
	s_cbranch_execz .LBB17_16
; %bb.15:                               ;   in Loop: Header=BB17_13 Depth=1
	v_lshl_add_u64 v[28:29], v[10:11], 3, v[18:19]
	v_lshl_add_u64 v[30:31], v[12:13], 3, v[20:21]
	v_cndmask_b32_e64 v29, v29, v31, s[10:11]
	v_cndmask_b32_e64 v28, v28, v30, s[10:11]
	global_load_dwordx2 v[28:29], v[28:29], off
	s_waitcnt vmcnt(0)
	ds_write_b64 v27, v[28:29]
.LBB17_16:                              ;   in Loop: Header=BB17_13 Depth=1
	s_or_b64 exec, exec, s[22:23]
	s_and_b64 exec, exec, s[8:9]
	s_cbranch_execz .LBB17_18
; %bb.17:                               ;   in Loop: Header=BB17_13 Depth=1
	v_lshl_add_u64 v[20:21], v[14:15], 3, v[20:21]
	v_lshl_add_u64 v[18:19], v[8:9], 3, v[18:19]
	v_cndmask_b32_e64 v19, v19, v21, s[10:11]
	v_cndmask_b32_e64 v18, v18, v20, s[10:11]
	global_load_dwordx2 v[18:19], v[18:19], off
	s_waitcnt vmcnt(0)
	ds_write_b64 v27, v[18:19] offset:512
.LBB17_18:                              ;   in Loop: Header=BB17_13 Depth=1
	s_or_b64 exec, exec, s[12:13]
	s_and_saveexec_b64 s[12:13], s[36:37]
	s_cbranch_execz .LBB17_20
; %bb.19:                               ;   in Loop: Header=BB17_13 Depth=1
	s_mul_i32 s22, s29, s14
	s_mul_hi_u32 s23, s28, s14
	s_add_i32 s23, s23, s22
	s_mul_i32 s22, s28, s14
	v_lshl_add_u64 v[18:19], s[22:23], 3, v[16:17]
	global_load_dwordx2 v[18:19], v[18:19], off
	s_waitcnt vmcnt(0)
	ds_write_b64 v26, v[18:19]
.LBB17_20:                              ;   in Loop: Header=BB17_13 Depth=1
	s_or_b64 exec, exec, s[12:13]
	s_waitcnt lgkmcnt(0)
	; wave barrier
	s_and_saveexec_b64 s[12:13], s[4:5]
	s_cbranch_execz .LBB17_12
; %bb.21:                               ;   in Loop: Header=BB17_13 Depth=1
	s_and_saveexec_b64 s[22:23], s[6:7]
	s_cbranch_execz .LBB17_24
; %bb.22:                               ;   in Loop: Header=BB17_13 Depth=1
	v_mov_b32_e32 v18, v24
	v_mov_b32_e32 v19, v23
	s_mov_b32 s33, s3
.LBB17_23:                              ;   Parent Loop BB17_13 Depth=1
                                        ; =>  This Inner Loop Header: Depth=2
	ds_read_b64 v[20:21], v18
	ds_read_b64 v[28:29], v19
	s_add_i32 s33, s33, -1
	v_add_u32_e32 v19, 8, v19
	v_add_u32_e32 v18, 8, v18
	s_cmp_lg_u32 s33, 0
	s_waitcnt lgkmcnt(0)
	v_fmac_f64_e32 v[0:1], v[20:21], v[28:29]
	s_cbranch_scc1 .LBB17_23
.LBB17_24:                              ;   in Loop: Header=BB17_13 Depth=1
	s_or_b64 exec, exec, s[22:23]
	s_and_saveexec_b64 s[22:23], s[8:9]
	s_cbranch_execz .LBB17_11
; %bb.25:                               ;   in Loop: Header=BB17_13 Depth=1
	v_mov_b32_e32 v18, v24
	s_mov_b32 s33, s3
	v_mov_b32_e32 v19, v25
.LBB17_26:                              ;   Parent Loop BB17_13 Depth=1
                                        ; =>  This Inner Loop Header: Depth=2
	ds_read_b64 v[20:21], v18
	ds_read_b64 v[28:29], v19
	s_add_i32 s33, s33, -1
	v_add_u32_e32 v19, 8, v19
	v_add_u32_e32 v18, 8, v18
	s_cmp_lg_u32 s33, 0
	s_waitcnt lgkmcnt(0)
	v_fmac_f64_e32 v[2:3], v[20:21], v[28:29]
	s_cbranch_scc1 .LBB17_26
	s_branch .LBB17_11
.LBB17_27:
	v_mov_b32_e32 v0, 0
	v_mov_b32_e32 v1, v0
	;; [unrolled: 1-line block ×4, first 2 shown]
.LBB17_28:
	s_and_b64 s[4:5], s[18:19], s[4:5]
	s_and_b64 exec, exec, s[4:5]
	s_cbranch_execz .LBB17_51
; %bb.29:
	s_load_dwordx2 s[4:5], s[0:1], 0x70
	s_mul_i32 s2, s3, s2
	v_add_u32_e32 v12, s2, v22
	v_ashrrev_i32_e32 v13, 31, v12
	s_cmp_lg_u32 s16, 1
	s_waitcnt lgkmcnt(0)
	v_mul_lo_u32 v9, s4, v13
	v_mul_lo_u32 v11, s5, v12
	v_mad_u64_u32 v[14:15], s[6:7], s4, v12, 0
	v_add3_u32 v15, v15, v9, v11
	v_cmp_neq_f64_e64 s[0:1], 0, v[6:7]
	s_cselect_b64 s[2:3], -1, 0
	v_lshl_add_u64 v[14:15], v[14:15], 3, s[30:31]
	v_lshl_add_u64 v[12:13], v[12:13], 3, s[30:31]
	v_cmp_gt_i32_e32 vcc, s15, v10
	s_and_saveexec_b64 s[6:7], vcc
	s_cbranch_execz .LBB17_40
; %bb.30:
	v_ashrrev_i32_e32 v11, 31, v10
	s_and_saveexec_b64 s[8:9], s[0:1]
	s_xor_b64 s[8:9], exec, s[8:9]
	s_cbranch_execz .LBB17_35
; %bb.31:
	s_mov_b64 s[10:11], -1
	s_and_b64 vcc, exec, s[2:3]
	s_cbranch_vccz .LBB17_33
; %bb.32:
	v_lshl_add_u64 v[16:17], v[10:11], 3, v[14:15]
	global_load_dwordx2 v[18:19], v[16:17], off
	v_mul_f64 v[20:21], v[4:5], v[0:1]
	s_mov_b64 s[10:11], 0
	s_waitcnt vmcnt(0)
	v_fmac_f64_e32 v[20:21], v[6:7], v[18:19]
	global_store_dwordx2 v[16:17], v[20:21], off
.LBB17_33:
	s_andn2_b64 vcc, exec, s[10:11]
	s_cbranch_vccnz .LBB17_35
; %bb.34:
	v_mul_lo_u32 v9, s5, v10
	v_mul_lo_u32 v16, s4, v11
	v_mad_u64_u32 v[10:11], s[10:11], s4, v10, 0
	v_add3_u32 v11, v11, v16, v9
	v_lshl_add_u64 v[10:11], v[10:11], 3, v[12:13]
	global_load_dwordx2 v[16:17], v[10:11], off
	v_mul_f64 v[18:19], v[4:5], v[0:1]
	s_waitcnt vmcnt(0)
	v_fmac_f64_e32 v[18:19], v[6:7], v[16:17]
	global_store_dwordx2 v[10:11], v[18:19], off
                                        ; implicit-def: $vgpr10
.LBB17_35:
	s_andn2_saveexec_b64 s[8:9], s[8:9]
	s_cbranch_execz .LBB17_40
; %bb.36:
	v_mul_f64 v[0:1], v[4:5], v[0:1]
	s_mov_b64 s[8:9], -1
	s_and_b64 vcc, exec, s[2:3]
	s_cbranch_vccz .LBB17_38
; %bb.37:
	v_lshl_add_u64 v[16:17], v[10:11], 3, v[14:15]
	global_store_dwordx2 v[16:17], v[0:1], off
	s_mov_b64 s[8:9], 0
.LBB17_38:
	s_andn2_b64 vcc, exec, s[8:9]
	s_cbranch_vccnz .LBB17_40
; %bb.39:
	v_mul_lo_u32 v9, s5, v10
	v_mul_lo_u32 v16, s4, v11
	v_mad_u64_u32 v[10:11], s[8:9], s4, v10, 0
	v_add3_u32 v11, v11, v16, v9
	v_lshl_add_u64 v[10:11], v[10:11], 3, v[12:13]
	global_store_dwordx2 v[10:11], v[0:1], off
.LBB17_40:
	s_or_b64 exec, exec, s[6:7]
	v_cmp_gt_i32_e32 vcc, s15, v8
	s_and_b64 exec, exec, vcc
	s_cbranch_execz .LBB17_51
; %bb.41:
	v_cndmask_b32_e64 v0, 0, 1, s[2:3]
	v_ashrrev_i32_e32 v9, 31, v8
	v_cmp_ne_u32_e64 s[2:3], 1, v0
	s_and_saveexec_b64 s[6:7], s[0:1]
	s_xor_b64 s[0:1], exec, s[6:7]
	s_cbranch_execz .LBB17_46
; %bb.42:
	s_and_b64 vcc, exec, s[2:3]
	s_mov_b64 s[6:7], -1
	s_cbranch_vccnz .LBB17_44
; %bb.43:
	v_lshl_add_u64 v[0:1], v[8:9], 3, v[14:15]
	global_load_dwordx2 v[10:11], v[0:1], off
	v_mul_f64 v[14:15], v[4:5], v[2:3]
	s_mov_b64 s[6:7], 0
	s_waitcnt vmcnt(0)
	v_fmac_f64_e32 v[14:15], v[6:7], v[10:11]
	global_store_dwordx2 v[0:1], v[14:15], off
.LBB17_44:
	s_andn2_b64 vcc, exec, s[6:7]
                                        ; implicit-def: $vgpr14_vgpr15
	s_cbranch_vccnz .LBB17_46
; %bb.45:
	v_mul_lo_u32 v10, s5, v8
	v_mul_lo_u32 v9, s4, v9
	v_mad_u64_u32 v[0:1], s[6:7], s4, v8, 0
	v_add3_u32 v1, v1, v9, v10
	v_lshl_add_u64 v[0:1], v[0:1], 3, v[12:13]
	global_load_dwordx2 v[8:9], v[0:1], off
	v_mul_f64 v[2:3], v[4:5], v[2:3]
                                        ; implicit-def: $vgpr12_vgpr13
                                        ; implicit-def: $vgpr4_vgpr5
                                        ; implicit-def: $vgpr14_vgpr15
	s_waitcnt vmcnt(0)
	v_fmac_f64_e32 v[2:3], v[6:7], v[8:9]
	global_store_dwordx2 v[0:1], v[2:3], off
                                        ; implicit-def: $vgpr0_vgpr1_vgpr2_vgpr3
                                        ; implicit-def: $vgpr8
.LBB17_46:
	s_andn2_saveexec_b64 s[0:1], s[0:1]
	s_cbranch_execz .LBB17_51
; %bb.47:
	v_mul_f64 v[0:1], v[4:5], v[2:3]
	s_and_b64 vcc, exec, s[2:3]
	s_mov_b64 s[0:1], -1
	s_cbranch_vccnz .LBB17_49
; %bb.48:
	v_lshl_add_u64 v[2:3], v[8:9], 3, v[14:15]
	s_mov_b64 s[0:1], 0
	global_store_dwordx2 v[2:3], v[0:1], off
.LBB17_49:
	s_andn2_b64 vcc, exec, s[0:1]
	s_cbranch_vccnz .LBB17_51
; %bb.50:
	v_mul_lo_u32 v4, s5, v8
	v_mul_lo_u32 v5, s4, v9
	v_mad_u64_u32 v[2:3], s[0:1], s4, v8, 0
	v_add3_u32 v3, v3, v5, v4
	v_lshl_add_u64 v[2:3], v[2:3], 3, v[12:13]
	global_store_dwordx2 v[2:3], v[0:1], off
.LBB17_51:
	s_endpgm
	.section	.rodata,"a",@progbits
	.p2align	6, 0x0
	.amdhsa_kernel _ZN9rocsparseL31bsrmm_large_blockdim_kernel_extILj4ELj16ELj2EliddddEEvb20rocsparse_direction_T3_S2_llNS_24const_host_device_scalarIT7_EEPKT2_PKS2_PKT4_S2_PKT5_llS5_PT6_ll16rocsparse_order_21rocsparse_index_base_b
		.amdhsa_group_segment_fixed_size 1152
		.amdhsa_private_segment_fixed_size 0
		.amdhsa_kernarg_size 140
		.amdhsa_user_sgpr_count 2
		.amdhsa_user_sgpr_dispatch_ptr 0
		.amdhsa_user_sgpr_queue_ptr 0
		.amdhsa_user_sgpr_kernarg_segment_ptr 1
		.amdhsa_user_sgpr_dispatch_id 0
		.amdhsa_user_sgpr_kernarg_preload_length 0
		.amdhsa_user_sgpr_kernarg_preload_offset 0
		.amdhsa_user_sgpr_private_segment_size 0
		.amdhsa_uses_dynamic_stack 0
		.amdhsa_enable_private_segment 0
		.amdhsa_system_sgpr_workgroup_id_x 1
		.amdhsa_system_sgpr_workgroup_id_y 1
		.amdhsa_system_sgpr_workgroup_id_z 0
		.amdhsa_system_sgpr_workgroup_info 0
		.amdhsa_system_vgpr_workitem_id 1
		.amdhsa_next_free_vgpr 32
		.amdhsa_next_free_sgpr 38
		.amdhsa_accum_offset 32
		.amdhsa_reserve_vcc 1
		.amdhsa_float_round_mode_32 0
		.amdhsa_float_round_mode_16_64 0
		.amdhsa_float_denorm_mode_32 3
		.amdhsa_float_denorm_mode_16_64 3
		.amdhsa_dx10_clamp 1
		.amdhsa_ieee_mode 1
		.amdhsa_fp16_overflow 0
		.amdhsa_tg_split 0
		.amdhsa_exception_fp_ieee_invalid_op 0
		.amdhsa_exception_fp_denorm_src 0
		.amdhsa_exception_fp_ieee_div_zero 0
		.amdhsa_exception_fp_ieee_overflow 0
		.amdhsa_exception_fp_ieee_underflow 0
		.amdhsa_exception_fp_ieee_inexact 0
		.amdhsa_exception_int_div_zero 0
	.end_amdhsa_kernel
	.section	.text._ZN9rocsparseL31bsrmm_large_blockdim_kernel_extILj4ELj16ELj2EliddddEEvb20rocsparse_direction_T3_S2_llNS_24const_host_device_scalarIT7_EEPKT2_PKS2_PKT4_S2_PKT5_llS5_PT6_ll16rocsparse_order_21rocsparse_index_base_b,"axG",@progbits,_ZN9rocsparseL31bsrmm_large_blockdim_kernel_extILj4ELj16ELj2EliddddEEvb20rocsparse_direction_T3_S2_llNS_24const_host_device_scalarIT7_EEPKT2_PKS2_PKT4_S2_PKT5_llS5_PT6_ll16rocsparse_order_21rocsparse_index_base_b,comdat
.Lfunc_end17:
	.size	_ZN9rocsparseL31bsrmm_large_blockdim_kernel_extILj4ELj16ELj2EliddddEEvb20rocsparse_direction_T3_S2_llNS_24const_host_device_scalarIT7_EEPKT2_PKS2_PKT4_S2_PKT5_llS5_PT6_ll16rocsparse_order_21rocsparse_index_base_b, .Lfunc_end17-_ZN9rocsparseL31bsrmm_large_blockdim_kernel_extILj4ELj16ELj2EliddddEEvb20rocsparse_direction_T3_S2_llNS_24const_host_device_scalarIT7_EEPKT2_PKS2_PKT4_S2_PKT5_llS5_PT6_ll16rocsparse_order_21rocsparse_index_base_b
                                        ; -- End function
	.set _ZN9rocsparseL31bsrmm_large_blockdim_kernel_extILj4ELj16ELj2EliddddEEvb20rocsparse_direction_T3_S2_llNS_24const_host_device_scalarIT7_EEPKT2_PKS2_PKT4_S2_PKT5_llS5_PT6_ll16rocsparse_order_21rocsparse_index_base_b.num_vgpr, 32
	.set _ZN9rocsparseL31bsrmm_large_blockdim_kernel_extILj4ELj16ELj2EliddddEEvb20rocsparse_direction_T3_S2_llNS_24const_host_device_scalarIT7_EEPKT2_PKS2_PKT4_S2_PKT5_llS5_PT6_ll16rocsparse_order_21rocsparse_index_base_b.num_agpr, 0
	.set _ZN9rocsparseL31bsrmm_large_blockdim_kernel_extILj4ELj16ELj2EliddddEEvb20rocsparse_direction_T3_S2_llNS_24const_host_device_scalarIT7_EEPKT2_PKS2_PKT4_S2_PKT5_llS5_PT6_ll16rocsparse_order_21rocsparse_index_base_b.numbered_sgpr, 38
	.set _ZN9rocsparseL31bsrmm_large_blockdim_kernel_extILj4ELj16ELj2EliddddEEvb20rocsparse_direction_T3_S2_llNS_24const_host_device_scalarIT7_EEPKT2_PKS2_PKT4_S2_PKT5_llS5_PT6_ll16rocsparse_order_21rocsparse_index_base_b.num_named_barrier, 0
	.set _ZN9rocsparseL31bsrmm_large_blockdim_kernel_extILj4ELj16ELj2EliddddEEvb20rocsparse_direction_T3_S2_llNS_24const_host_device_scalarIT7_EEPKT2_PKS2_PKT4_S2_PKT5_llS5_PT6_ll16rocsparse_order_21rocsparse_index_base_b.private_seg_size, 0
	.set _ZN9rocsparseL31bsrmm_large_blockdim_kernel_extILj4ELj16ELj2EliddddEEvb20rocsparse_direction_T3_S2_llNS_24const_host_device_scalarIT7_EEPKT2_PKS2_PKT4_S2_PKT5_llS5_PT6_ll16rocsparse_order_21rocsparse_index_base_b.uses_vcc, 1
	.set _ZN9rocsparseL31bsrmm_large_blockdim_kernel_extILj4ELj16ELj2EliddddEEvb20rocsparse_direction_T3_S2_llNS_24const_host_device_scalarIT7_EEPKT2_PKS2_PKT4_S2_PKT5_llS5_PT6_ll16rocsparse_order_21rocsparse_index_base_b.uses_flat_scratch, 0
	.set _ZN9rocsparseL31bsrmm_large_blockdim_kernel_extILj4ELj16ELj2EliddddEEvb20rocsparse_direction_T3_S2_llNS_24const_host_device_scalarIT7_EEPKT2_PKS2_PKT4_S2_PKT5_llS5_PT6_ll16rocsparse_order_21rocsparse_index_base_b.has_dyn_sized_stack, 0
	.set _ZN9rocsparseL31bsrmm_large_blockdim_kernel_extILj4ELj16ELj2EliddddEEvb20rocsparse_direction_T3_S2_llNS_24const_host_device_scalarIT7_EEPKT2_PKS2_PKT4_S2_PKT5_llS5_PT6_ll16rocsparse_order_21rocsparse_index_base_b.has_recursion, 0
	.set _ZN9rocsparseL31bsrmm_large_blockdim_kernel_extILj4ELj16ELj2EliddddEEvb20rocsparse_direction_T3_S2_llNS_24const_host_device_scalarIT7_EEPKT2_PKS2_PKT4_S2_PKT5_llS5_PT6_ll16rocsparse_order_21rocsparse_index_base_b.has_indirect_call, 0
	.section	.AMDGPU.csdata,"",@progbits
; Kernel info:
; codeLenInByte = 1712
; TotalNumSgprs: 44
; NumVgprs: 32
; NumAgprs: 0
; TotalNumVgprs: 32
; ScratchSize: 0
; MemoryBound: 0
; FloatMode: 240
; IeeeMode: 1
; LDSByteSize: 1152 bytes/workgroup (compile time only)
; SGPRBlocks: 5
; VGPRBlocks: 3
; NumSGPRsForWavesPerEU: 44
; NumVGPRsForWavesPerEU: 32
; AccumOffset: 32
; Occupancy: 8
; WaveLimiterHint : 1
; COMPUTE_PGM_RSRC2:SCRATCH_EN: 0
; COMPUTE_PGM_RSRC2:USER_SGPR: 2
; COMPUTE_PGM_RSRC2:TRAP_HANDLER: 0
; COMPUTE_PGM_RSRC2:TGID_X_EN: 1
; COMPUTE_PGM_RSRC2:TGID_Y_EN: 1
; COMPUTE_PGM_RSRC2:TGID_Z_EN: 0
; COMPUTE_PGM_RSRC2:TIDIG_COMP_CNT: 1
; COMPUTE_PGM_RSRC3_GFX90A:ACCUM_OFFSET: 7
; COMPUTE_PGM_RSRC3_GFX90A:TG_SPLIT: 0
	.section	.text._ZN9rocsparseL31bsrmm_large_blockdim_kernel_extILj16ELj16ELj2EliddddEEvb20rocsparse_direction_T3_S2_llNS_24const_host_device_scalarIT7_EEPKT2_PKS2_PKT4_S2_PKT5_llS5_PT6_ll16rocsparse_order_21rocsparse_index_base_b,"axG",@progbits,_ZN9rocsparseL31bsrmm_large_blockdim_kernel_extILj16ELj16ELj2EliddddEEvb20rocsparse_direction_T3_S2_llNS_24const_host_device_scalarIT7_EEPKT2_PKS2_PKT4_S2_PKT5_llS5_PT6_ll16rocsparse_order_21rocsparse_index_base_b,comdat
	.globl	_ZN9rocsparseL31bsrmm_large_blockdim_kernel_extILj16ELj16ELj2EliddddEEvb20rocsparse_direction_T3_S2_llNS_24const_host_device_scalarIT7_EEPKT2_PKS2_PKT4_S2_PKT5_llS5_PT6_ll16rocsparse_order_21rocsparse_index_base_b ; -- Begin function _ZN9rocsparseL31bsrmm_large_blockdim_kernel_extILj16ELj16ELj2EliddddEEvb20rocsparse_direction_T3_S2_llNS_24const_host_device_scalarIT7_EEPKT2_PKS2_PKT4_S2_PKT5_llS5_PT6_ll16rocsparse_order_21rocsparse_index_base_b
	.p2align	8
	.type	_ZN9rocsparseL31bsrmm_large_blockdim_kernel_extILj16ELj16ELj2EliddddEEvb20rocsparse_direction_T3_S2_llNS_24const_host_device_scalarIT7_EEPKT2_PKS2_PKT4_S2_PKT5_llS5_PT6_ll16rocsparse_order_21rocsparse_index_base_b,@function
_ZN9rocsparseL31bsrmm_large_blockdim_kernel_extILj16ELj16ELj2EliddddEEvb20rocsparse_direction_T3_S2_llNS_24const_host_device_scalarIT7_EEPKT2_PKS2_PKT4_S2_PKT5_llS5_PT6_ll16rocsparse_order_21rocsparse_index_base_b: ; @_ZN9rocsparseL31bsrmm_large_blockdim_kernel_extILj16ELj16ELj2EliddddEEvb20rocsparse_direction_T3_S2_llNS_24const_host_device_scalarIT7_EEPKT2_PKS2_PKT4_S2_PKT5_llS5_PT6_ll16rocsparse_order_21rocsparse_index_base_b
; %bb.0:
	s_load_dwordx4 s[16:19], s[0:1], 0x80
	s_load_dwordx2 s[10:11], s[0:1], 0x20
	s_load_dwordx2 s[6:7], s[0:1], 0x60
	s_mov_b32 s4, s3
	s_waitcnt lgkmcnt(0)
	s_bitcmp1_b32 s18, 0
	s_cselect_b64 s[12:13], -1, 0
	s_xor_b64 s[8:9], s[12:13], -1
	s_and_b64 vcc, exec, s[12:13]
	v_mov_b64_e32 v[4:5], s[10:11]
	s_cbranch_vccnz .LBB18_2
; %bb.1:
	v_mov_b64_e32 v[2:3], s[10:11]
	flat_load_dwordx2 v[4:5], v[2:3]
.LBB18_2:
	s_andn2_b64 vcc, exec, s[8:9]
	v_mov_b64_e32 v[6:7], s[6:7]
	s_cbranch_vccnz .LBB18_4
; %bb.3:
	v_mov_b64_e32 v[2:3], s[6:7]
	flat_load_dwordx2 v[6:7], v[2:3]
.LBB18_4:
	s_waitcnt vmcnt(0) lgkmcnt(0)
	v_cmp_neq_f64_e32 vcc, 0, v[4:5]
	v_cmp_neq_f64_e64 s[6:7], 1.0, v[6:7]
	s_mov_b64 s[28:29], 0
	s_or_b64 s[6:7], vcc, s[6:7]
	s_and_saveexec_b64 s[8:9], s[6:7]
	s_cbranch_execz .LBB18_51
; %bb.5:
	s_load_dwordx4 s[12:15], s[0:1], 0x0
	s_load_dwordx2 s[6:7], s[0:1], 0x28
	s_waitcnt lgkmcnt(0)
	s_cmp_lt_i32 s2, s14
	s_cselect_b64 s[18:19], -1, 0
	s_cmp_ge_i32 s2, s14
	s_cbranch_scc1 .LBB18_7
; %bb.6:
	s_ashr_i32 s3, s2, 31
	s_lshl_b64 s[8:9], s[2:3], 3
	s_add_u32 s8, s6, s8
	s_addc_u32 s9, s7, s9
	s_load_dwordx2 s[8:9], s[8:9], 0x0
	s_waitcnt lgkmcnt(0)
	s_sub_u32 s28, s8, s17
	s_subb_u32 s29, s9, 0
.LBB18_7:
	s_andn2_b64 vcc, exec, s[18:19]
	s_mov_b64 s[34:35], 0
	s_cbranch_vccnz .LBB18_9
; %bb.8:
	s_ashr_i32 s3, s2, 31
	s_lshl_b64 s[8:9], s[2:3], 3
	s_add_u32 s6, s6, s8
	s_addc_u32 s7, s7, s9
	s_load_dwordx2 s[6:7], s[6:7], 0x8
	s_waitcnt lgkmcnt(0)
	s_sub_u32 s34, s6, s17
	s_subb_u32 s35, s7, 0
.LBB18_9:
	s_load_dwordx2 s[30:31], s[0:1], 0x68
	s_load_dword s3, s[0:1], 0x40
	v_bfe_u32 v1, v0, 10, 10
	v_lshl_add_u32 v10, s4, 5, v1
	v_mov_b64_e32 v[2:3], s[34:35]
	v_add_u32_e32 v8, 16, v10
	v_and_b32_e32 v22, 0x3ff, v0
	v_cmp_ge_i64_e32 vcc, s[28:29], v[2:3]
	s_waitcnt lgkmcnt(0)
	v_cmp_gt_i32_e64 s[4:5], s3, v22
	v_cmp_gt_i32_e64 s[6:7], s15, v10
	;; [unrolled: 1-line block ×3, first 2 shown]
	s_cbranch_vccnz .LBB18_27
; %bb.10:
	s_load_dwordx4 s[20:23], s[0:1], 0x30
	s_load_dwordx4 s[24:27], s[0:1], 0x48
	v_cmp_gt_i32_e32 vcc, s3, v1
	v_lshlrev_b32_e32 v2, 3, v1
	v_lshlrev_b32_e32 v23, 7, v1
	v_mul_lo_u32 v0, s3, v1
	v_mov_b32_e32 v1, 0
	s_and_b64 s[36:37], s[4:5], vcc
	v_lshlrev_b32_e32 v18, 3, v22
	s_waitcnt lgkmcnt(0)
	v_lshl_add_u64 v[12:13], v[0:1], 3, s[22:23]
	v_mov_b32_e32 v19, v1
	v_mul_lo_u32 v0, s3, v22
	s_bitcmp1_b32 s12, 0
	v_lshl_add_u64 v[16:17], v[12:13], 0, v[18:19]
	v_lshl_add_u64 v[12:13], v[0:1], 3, s[22:23]
	v_mov_b32_e32 v3, v1
	v_ashrrev_i32_e32 v11, 31, v10
	s_cselect_b64 s[10:11], -1, 0
	v_add_u32_e32 v20, 0x1000, v2
	s_cmp_eq_u32 s13, 0
	v_lshl_add_u64 v[2:3], v[12:13], 0, v[2:3]
	v_mul_lo_u32 v0, s27, v10
	v_mul_lo_u32 v9, s26, v11
	v_mad_u64_u32 v[12:13], s[12:13], s26, v10, 0
	v_add3_u32 v13, v13, v9, v0
	v_ashrrev_i32_e32 v9, 31, v8
	v_lshlrev_b32_e32 v19, 7, v22
	v_mul_lo_u32 v0, s27, v8
	v_mul_lo_u32 v21, s26, v9
	v_mad_u64_u32 v[14:15], s[12:13], s26, v8, 0
	s_cselect_b64 vcc, -1, 0
	s_mul_i32 s14, s3, s3
	v_add3_u32 v15, v15, v21, v0
	v_cndmask_b32_e32 v17, v17, v3, vcc
	v_cndmask_b32_e32 v16, v16, v2, vcc
	v_add_u32_e32 v24, 0x1000, v19
	v_add_u32_e32 v25, 0x800, v23
	v_mov_b32_e32 v0, v1
	v_mov_b32_e32 v2, v1
	;; [unrolled: 1-line block ×3, first 2 shown]
	v_add_u32_e32 v26, v18, v23
	v_add_u32_e32 v27, v20, v19
	s_branch .LBB18_13
.LBB18_11:                              ;   in Loop: Header=BB18_13 Depth=1
	s_or_b64 exec, exec, s[22:23]
.LBB18_12:                              ;   in Loop: Header=BB18_13 Depth=1
	s_or_b64 exec, exec, s[12:13]
	s_add_u32 s28, s28, 1
	s_addc_u32 s29, s29, 0
	v_mov_b64_e32 v[18:19], s[34:35]
	v_cmp_ge_i64_e32 vcc, s[28:29], v[18:19]
	s_barrier
	s_cbranch_vccnz .LBB18_28
.LBB18_13:                              ; =>This Loop Header: Depth=1
                                        ;     Child Loop BB18_23 Depth 2
                                        ;     Child Loop BB18_26 Depth 2
	s_and_saveexec_b64 s[12:13], s[4:5]
	s_cbranch_execz .LBB18_18
; %bb.14:                               ;   in Loop: Header=BB18_13 Depth=1
	s_lshl_b64 s[22:23], s[28:29], 2
	s_add_u32 s22, s20, s22
	s_addc_u32 s23, s21, s23
	s_load_dword s22, s[22:23], 0x0
	s_waitcnt lgkmcnt(0)
	s_sub_i32 s22, s22, s17
	s_mul_i32 s22, s22, s3
	v_add_u32_e32 v20, s22, v22
	v_ashrrev_i32_e32 v21, 31, v20
	v_mul_lo_u32 v28, s27, v20
	v_mad_u64_u32 v[18:19], s[22:23], s26, v20, 0
	v_mul_lo_u32 v29, s26, v21
	v_add3_u32 v19, v19, v29, v28
	v_lshl_add_u64 v[18:19], v[18:19], 3, s[24:25]
	v_lshl_add_u64 v[20:21], v[20:21], 3, s[24:25]
	s_and_saveexec_b64 s[22:23], s[6:7]
	s_cbranch_execz .LBB18_16
; %bb.15:                               ;   in Loop: Header=BB18_13 Depth=1
	v_lshl_add_u64 v[28:29], v[10:11], 3, v[18:19]
	v_lshl_add_u64 v[30:31], v[12:13], 3, v[20:21]
	v_cndmask_b32_e64 v29, v29, v31, s[10:11]
	v_cndmask_b32_e64 v28, v28, v30, s[10:11]
	global_load_dwordx2 v[28:29], v[28:29], off
	s_waitcnt vmcnt(0)
	ds_write_b64 v26, v[28:29]
.LBB18_16:                              ;   in Loop: Header=BB18_13 Depth=1
	s_or_b64 exec, exec, s[22:23]
	s_and_b64 exec, exec, s[8:9]
	s_cbranch_execz .LBB18_18
; %bb.17:                               ;   in Loop: Header=BB18_13 Depth=1
	v_lshl_add_u64 v[20:21], v[14:15], 3, v[20:21]
	v_lshl_add_u64 v[18:19], v[8:9], 3, v[18:19]
	v_cndmask_b32_e64 v19, v19, v21, s[10:11]
	v_cndmask_b32_e64 v18, v18, v20, s[10:11]
	global_load_dwordx2 v[18:19], v[18:19], off
	s_waitcnt vmcnt(0)
	ds_write_b64 v26, v[18:19] offset:2048
.LBB18_18:                              ;   in Loop: Header=BB18_13 Depth=1
	s_or_b64 exec, exec, s[12:13]
	s_and_saveexec_b64 s[12:13], s[36:37]
	s_cbranch_execz .LBB18_20
; %bb.19:                               ;   in Loop: Header=BB18_13 Depth=1
	s_mul_i32 s22, s29, s14
	s_mul_hi_u32 s23, s28, s14
	s_add_i32 s23, s23, s22
	s_mul_i32 s22, s28, s14
	v_lshl_add_u64 v[18:19], s[22:23], 3, v[16:17]
	global_load_dwordx2 v[18:19], v[18:19], off
	s_waitcnt vmcnt(0)
	ds_write_b64 v27, v[18:19]
.LBB18_20:                              ;   in Loop: Header=BB18_13 Depth=1
	s_or_b64 exec, exec, s[12:13]
	s_waitcnt lgkmcnt(0)
	s_barrier
	s_and_saveexec_b64 s[12:13], s[4:5]
	s_cbranch_execz .LBB18_12
; %bb.21:                               ;   in Loop: Header=BB18_13 Depth=1
	s_and_saveexec_b64 s[22:23], s[6:7]
	s_cbranch_execz .LBB18_24
; %bb.22:                               ;   in Loop: Header=BB18_13 Depth=1
	v_mov_b32_e32 v18, v24
	v_mov_b32_e32 v19, v23
	s_mov_b32 s33, s3
.LBB18_23:                              ;   Parent Loop BB18_13 Depth=1
                                        ; =>  This Inner Loop Header: Depth=2
	ds_read_b64 v[20:21], v18
	ds_read_b64 v[28:29], v19
	s_add_i32 s33, s33, -1
	v_add_u32_e32 v19, 8, v19
	v_add_u32_e32 v18, 8, v18
	s_cmp_lg_u32 s33, 0
	s_waitcnt lgkmcnt(0)
	v_fmac_f64_e32 v[0:1], v[20:21], v[28:29]
	s_cbranch_scc1 .LBB18_23
.LBB18_24:                              ;   in Loop: Header=BB18_13 Depth=1
	s_or_b64 exec, exec, s[22:23]
	s_and_saveexec_b64 s[22:23], s[8:9]
	s_cbranch_execz .LBB18_11
; %bb.25:                               ;   in Loop: Header=BB18_13 Depth=1
	v_mov_b32_e32 v18, v24
	s_mov_b32 s33, s3
	v_mov_b32_e32 v19, v25
.LBB18_26:                              ;   Parent Loop BB18_13 Depth=1
                                        ; =>  This Inner Loop Header: Depth=2
	ds_read_b64 v[20:21], v18
	ds_read_b64 v[28:29], v19
	s_add_i32 s33, s33, -1
	v_add_u32_e32 v19, 8, v19
	v_add_u32_e32 v18, 8, v18
	s_cmp_lg_u32 s33, 0
	s_waitcnt lgkmcnt(0)
	v_fmac_f64_e32 v[2:3], v[20:21], v[28:29]
	s_cbranch_scc1 .LBB18_26
	s_branch .LBB18_11
.LBB18_27:
	v_mov_b32_e32 v0, 0
	v_mov_b32_e32 v1, v0
	;; [unrolled: 1-line block ×4, first 2 shown]
.LBB18_28:
	s_and_b64 s[4:5], s[18:19], s[4:5]
	s_and_b64 exec, exec, s[4:5]
	s_cbranch_execz .LBB18_51
; %bb.29:
	s_load_dwordx2 s[4:5], s[0:1], 0x70
	s_mul_i32 s2, s3, s2
	v_add_u32_e32 v12, s2, v22
	v_ashrrev_i32_e32 v13, 31, v12
	s_cmp_lg_u32 s16, 1
	s_waitcnt lgkmcnt(0)
	v_mul_lo_u32 v9, s4, v13
	v_mul_lo_u32 v11, s5, v12
	v_mad_u64_u32 v[14:15], s[6:7], s4, v12, 0
	v_add3_u32 v15, v15, v9, v11
	v_cmp_neq_f64_e64 s[0:1], 0, v[6:7]
	s_cselect_b64 s[2:3], -1, 0
	v_lshl_add_u64 v[14:15], v[14:15], 3, s[30:31]
	v_lshl_add_u64 v[12:13], v[12:13], 3, s[30:31]
	v_cmp_gt_i32_e32 vcc, s15, v10
	s_and_saveexec_b64 s[6:7], vcc
	s_cbranch_execz .LBB18_40
; %bb.30:
	v_ashrrev_i32_e32 v11, 31, v10
	s_and_saveexec_b64 s[8:9], s[0:1]
	s_xor_b64 s[8:9], exec, s[8:9]
	s_cbranch_execz .LBB18_35
; %bb.31:
	s_mov_b64 s[10:11], -1
	s_and_b64 vcc, exec, s[2:3]
	s_cbranch_vccz .LBB18_33
; %bb.32:
	v_lshl_add_u64 v[16:17], v[10:11], 3, v[14:15]
	global_load_dwordx2 v[18:19], v[16:17], off
	v_mul_f64 v[20:21], v[4:5], v[0:1]
	s_mov_b64 s[10:11], 0
	s_waitcnt vmcnt(0)
	v_fmac_f64_e32 v[20:21], v[6:7], v[18:19]
	global_store_dwordx2 v[16:17], v[20:21], off
.LBB18_33:
	s_andn2_b64 vcc, exec, s[10:11]
	s_cbranch_vccnz .LBB18_35
; %bb.34:
	v_mul_lo_u32 v9, s5, v10
	v_mul_lo_u32 v16, s4, v11
	v_mad_u64_u32 v[10:11], s[10:11], s4, v10, 0
	v_add3_u32 v11, v11, v16, v9
	v_lshl_add_u64 v[10:11], v[10:11], 3, v[12:13]
	global_load_dwordx2 v[16:17], v[10:11], off
	v_mul_f64 v[18:19], v[4:5], v[0:1]
	s_waitcnt vmcnt(0)
	v_fmac_f64_e32 v[18:19], v[6:7], v[16:17]
	global_store_dwordx2 v[10:11], v[18:19], off
                                        ; implicit-def: $vgpr10
.LBB18_35:
	s_andn2_saveexec_b64 s[8:9], s[8:9]
	s_cbranch_execz .LBB18_40
; %bb.36:
	v_mul_f64 v[0:1], v[4:5], v[0:1]
	s_mov_b64 s[8:9], -1
	s_and_b64 vcc, exec, s[2:3]
	s_cbranch_vccz .LBB18_38
; %bb.37:
	v_lshl_add_u64 v[16:17], v[10:11], 3, v[14:15]
	global_store_dwordx2 v[16:17], v[0:1], off
	s_mov_b64 s[8:9], 0
.LBB18_38:
	s_andn2_b64 vcc, exec, s[8:9]
	s_cbranch_vccnz .LBB18_40
; %bb.39:
	v_mul_lo_u32 v9, s5, v10
	v_mul_lo_u32 v16, s4, v11
	v_mad_u64_u32 v[10:11], s[8:9], s4, v10, 0
	v_add3_u32 v11, v11, v16, v9
	v_lshl_add_u64 v[10:11], v[10:11], 3, v[12:13]
	global_store_dwordx2 v[10:11], v[0:1], off
.LBB18_40:
	s_or_b64 exec, exec, s[6:7]
	v_cmp_gt_i32_e32 vcc, s15, v8
	s_and_b64 exec, exec, vcc
	s_cbranch_execz .LBB18_51
; %bb.41:
	v_cndmask_b32_e64 v0, 0, 1, s[2:3]
	v_ashrrev_i32_e32 v9, 31, v8
	v_cmp_ne_u32_e64 s[2:3], 1, v0
	s_and_saveexec_b64 s[6:7], s[0:1]
	s_xor_b64 s[0:1], exec, s[6:7]
	s_cbranch_execz .LBB18_46
; %bb.42:
	s_and_b64 vcc, exec, s[2:3]
	s_mov_b64 s[6:7], -1
	s_cbranch_vccnz .LBB18_44
; %bb.43:
	v_lshl_add_u64 v[0:1], v[8:9], 3, v[14:15]
	global_load_dwordx2 v[10:11], v[0:1], off
	v_mul_f64 v[14:15], v[4:5], v[2:3]
	s_mov_b64 s[6:7], 0
	s_waitcnt vmcnt(0)
	v_fmac_f64_e32 v[14:15], v[6:7], v[10:11]
	global_store_dwordx2 v[0:1], v[14:15], off
.LBB18_44:
	s_andn2_b64 vcc, exec, s[6:7]
                                        ; implicit-def: $vgpr14_vgpr15
	s_cbranch_vccnz .LBB18_46
; %bb.45:
	v_mul_lo_u32 v10, s5, v8
	v_mul_lo_u32 v9, s4, v9
	v_mad_u64_u32 v[0:1], s[6:7], s4, v8, 0
	v_add3_u32 v1, v1, v9, v10
	v_lshl_add_u64 v[0:1], v[0:1], 3, v[12:13]
	global_load_dwordx2 v[8:9], v[0:1], off
	v_mul_f64 v[2:3], v[4:5], v[2:3]
                                        ; implicit-def: $vgpr12_vgpr13
                                        ; implicit-def: $vgpr4_vgpr5
                                        ; implicit-def: $vgpr14_vgpr15
	s_waitcnt vmcnt(0)
	v_fmac_f64_e32 v[2:3], v[6:7], v[8:9]
	global_store_dwordx2 v[0:1], v[2:3], off
                                        ; implicit-def: $vgpr0_vgpr1_vgpr2_vgpr3
                                        ; implicit-def: $vgpr8
.LBB18_46:
	s_andn2_saveexec_b64 s[0:1], s[0:1]
	s_cbranch_execz .LBB18_51
; %bb.47:
	v_mul_f64 v[0:1], v[4:5], v[2:3]
	s_and_b64 vcc, exec, s[2:3]
	s_mov_b64 s[0:1], -1
	s_cbranch_vccnz .LBB18_49
; %bb.48:
	v_lshl_add_u64 v[2:3], v[8:9], 3, v[14:15]
	s_mov_b64 s[0:1], 0
	global_store_dwordx2 v[2:3], v[0:1], off
.LBB18_49:
	s_andn2_b64 vcc, exec, s[0:1]
	s_cbranch_vccnz .LBB18_51
; %bb.50:
	v_mul_lo_u32 v4, s5, v8
	v_mul_lo_u32 v5, s4, v9
	v_mad_u64_u32 v[2:3], s[0:1], s4, v8, 0
	v_add3_u32 v3, v3, v5, v4
	v_lshl_add_u64 v[2:3], v[2:3], 3, v[12:13]
	global_store_dwordx2 v[2:3], v[0:1], off
.LBB18_51:
	s_endpgm
	.section	.rodata,"a",@progbits
	.p2align	6, 0x0
	.amdhsa_kernel _ZN9rocsparseL31bsrmm_large_blockdim_kernel_extILj16ELj16ELj2EliddddEEvb20rocsparse_direction_T3_S2_llNS_24const_host_device_scalarIT7_EEPKT2_PKS2_PKT4_S2_PKT5_llS5_PT6_ll16rocsparse_order_21rocsparse_index_base_b
		.amdhsa_group_segment_fixed_size 6144
		.amdhsa_private_segment_fixed_size 0
		.amdhsa_kernarg_size 140
		.amdhsa_user_sgpr_count 2
		.amdhsa_user_sgpr_dispatch_ptr 0
		.amdhsa_user_sgpr_queue_ptr 0
		.amdhsa_user_sgpr_kernarg_segment_ptr 1
		.amdhsa_user_sgpr_dispatch_id 0
		.amdhsa_user_sgpr_kernarg_preload_length 0
		.amdhsa_user_sgpr_kernarg_preload_offset 0
		.amdhsa_user_sgpr_private_segment_size 0
		.amdhsa_uses_dynamic_stack 0
		.amdhsa_enable_private_segment 0
		.amdhsa_system_sgpr_workgroup_id_x 1
		.amdhsa_system_sgpr_workgroup_id_y 1
		.amdhsa_system_sgpr_workgroup_id_z 0
		.amdhsa_system_sgpr_workgroup_info 0
		.amdhsa_system_vgpr_workitem_id 1
		.amdhsa_next_free_vgpr 32
		.amdhsa_next_free_sgpr 38
		.amdhsa_accum_offset 32
		.amdhsa_reserve_vcc 1
		.amdhsa_float_round_mode_32 0
		.amdhsa_float_round_mode_16_64 0
		.amdhsa_float_denorm_mode_32 3
		.amdhsa_float_denorm_mode_16_64 3
		.amdhsa_dx10_clamp 1
		.amdhsa_ieee_mode 1
		.amdhsa_fp16_overflow 0
		.amdhsa_tg_split 0
		.amdhsa_exception_fp_ieee_invalid_op 0
		.amdhsa_exception_fp_denorm_src 0
		.amdhsa_exception_fp_ieee_div_zero 0
		.amdhsa_exception_fp_ieee_overflow 0
		.amdhsa_exception_fp_ieee_underflow 0
		.amdhsa_exception_fp_ieee_inexact 0
		.amdhsa_exception_int_div_zero 0
	.end_amdhsa_kernel
	.section	.text._ZN9rocsparseL31bsrmm_large_blockdim_kernel_extILj16ELj16ELj2EliddddEEvb20rocsparse_direction_T3_S2_llNS_24const_host_device_scalarIT7_EEPKT2_PKS2_PKT4_S2_PKT5_llS5_PT6_ll16rocsparse_order_21rocsparse_index_base_b,"axG",@progbits,_ZN9rocsparseL31bsrmm_large_blockdim_kernel_extILj16ELj16ELj2EliddddEEvb20rocsparse_direction_T3_S2_llNS_24const_host_device_scalarIT7_EEPKT2_PKS2_PKT4_S2_PKT5_llS5_PT6_ll16rocsparse_order_21rocsparse_index_base_b,comdat
.Lfunc_end18:
	.size	_ZN9rocsparseL31bsrmm_large_blockdim_kernel_extILj16ELj16ELj2EliddddEEvb20rocsparse_direction_T3_S2_llNS_24const_host_device_scalarIT7_EEPKT2_PKS2_PKT4_S2_PKT5_llS5_PT6_ll16rocsparse_order_21rocsparse_index_base_b, .Lfunc_end18-_ZN9rocsparseL31bsrmm_large_blockdim_kernel_extILj16ELj16ELj2EliddddEEvb20rocsparse_direction_T3_S2_llNS_24const_host_device_scalarIT7_EEPKT2_PKS2_PKT4_S2_PKT5_llS5_PT6_ll16rocsparse_order_21rocsparse_index_base_b
                                        ; -- End function
	.set _ZN9rocsparseL31bsrmm_large_blockdim_kernel_extILj16ELj16ELj2EliddddEEvb20rocsparse_direction_T3_S2_llNS_24const_host_device_scalarIT7_EEPKT2_PKS2_PKT4_S2_PKT5_llS5_PT6_ll16rocsparse_order_21rocsparse_index_base_b.num_vgpr, 32
	.set _ZN9rocsparseL31bsrmm_large_blockdim_kernel_extILj16ELj16ELj2EliddddEEvb20rocsparse_direction_T3_S2_llNS_24const_host_device_scalarIT7_EEPKT2_PKS2_PKT4_S2_PKT5_llS5_PT6_ll16rocsparse_order_21rocsparse_index_base_b.num_agpr, 0
	.set _ZN9rocsparseL31bsrmm_large_blockdim_kernel_extILj16ELj16ELj2EliddddEEvb20rocsparse_direction_T3_S2_llNS_24const_host_device_scalarIT7_EEPKT2_PKS2_PKT4_S2_PKT5_llS5_PT6_ll16rocsparse_order_21rocsparse_index_base_b.numbered_sgpr, 38
	.set _ZN9rocsparseL31bsrmm_large_blockdim_kernel_extILj16ELj16ELj2EliddddEEvb20rocsparse_direction_T3_S2_llNS_24const_host_device_scalarIT7_EEPKT2_PKS2_PKT4_S2_PKT5_llS5_PT6_ll16rocsparse_order_21rocsparse_index_base_b.num_named_barrier, 0
	.set _ZN9rocsparseL31bsrmm_large_blockdim_kernel_extILj16ELj16ELj2EliddddEEvb20rocsparse_direction_T3_S2_llNS_24const_host_device_scalarIT7_EEPKT2_PKS2_PKT4_S2_PKT5_llS5_PT6_ll16rocsparse_order_21rocsparse_index_base_b.private_seg_size, 0
	.set _ZN9rocsparseL31bsrmm_large_blockdim_kernel_extILj16ELj16ELj2EliddddEEvb20rocsparse_direction_T3_S2_llNS_24const_host_device_scalarIT7_EEPKT2_PKS2_PKT4_S2_PKT5_llS5_PT6_ll16rocsparse_order_21rocsparse_index_base_b.uses_vcc, 1
	.set _ZN9rocsparseL31bsrmm_large_blockdim_kernel_extILj16ELj16ELj2EliddddEEvb20rocsparse_direction_T3_S2_llNS_24const_host_device_scalarIT7_EEPKT2_PKS2_PKT4_S2_PKT5_llS5_PT6_ll16rocsparse_order_21rocsparse_index_base_b.uses_flat_scratch, 0
	.set _ZN9rocsparseL31bsrmm_large_blockdim_kernel_extILj16ELj16ELj2EliddddEEvb20rocsparse_direction_T3_S2_llNS_24const_host_device_scalarIT7_EEPKT2_PKS2_PKT4_S2_PKT5_llS5_PT6_ll16rocsparse_order_21rocsparse_index_base_b.has_dyn_sized_stack, 0
	.set _ZN9rocsparseL31bsrmm_large_blockdim_kernel_extILj16ELj16ELj2EliddddEEvb20rocsparse_direction_T3_S2_llNS_24const_host_device_scalarIT7_EEPKT2_PKS2_PKT4_S2_PKT5_llS5_PT6_ll16rocsparse_order_21rocsparse_index_base_b.has_recursion, 0
	.set _ZN9rocsparseL31bsrmm_large_blockdim_kernel_extILj16ELj16ELj2EliddddEEvb20rocsparse_direction_T3_S2_llNS_24const_host_device_scalarIT7_EEPKT2_PKS2_PKT4_S2_PKT5_llS5_PT6_ll16rocsparse_order_21rocsparse_index_base_b.has_indirect_call, 0
	.section	.AMDGPU.csdata,"",@progbits
; Kernel info:
; codeLenInByte = 1720
; TotalNumSgprs: 44
; NumVgprs: 32
; NumAgprs: 0
; TotalNumVgprs: 32
; ScratchSize: 0
; MemoryBound: 0
; FloatMode: 240
; IeeeMode: 1
; LDSByteSize: 6144 bytes/workgroup (compile time only)
; SGPRBlocks: 5
; VGPRBlocks: 3
; NumSGPRsForWavesPerEU: 44
; NumVGPRsForWavesPerEU: 32
; AccumOffset: 32
; Occupancy: 8
; WaveLimiterHint : 1
; COMPUTE_PGM_RSRC2:SCRATCH_EN: 0
; COMPUTE_PGM_RSRC2:USER_SGPR: 2
; COMPUTE_PGM_RSRC2:TRAP_HANDLER: 0
; COMPUTE_PGM_RSRC2:TGID_X_EN: 1
; COMPUTE_PGM_RSRC2:TGID_Y_EN: 1
; COMPUTE_PGM_RSRC2:TGID_Z_EN: 0
; COMPUTE_PGM_RSRC2:TIDIG_COMP_CNT: 1
; COMPUTE_PGM_RSRC3_GFX90A:ACCUM_OFFSET: 7
; COMPUTE_PGM_RSRC3_GFX90A:TG_SPLIT: 0
	.section	.text._ZN9rocsparseL31bsrmm_large_blockdim_kernel_extILj32ELj32ELj2EliddddEEvb20rocsparse_direction_T3_S2_llNS_24const_host_device_scalarIT7_EEPKT2_PKS2_PKT4_S2_PKT5_llS5_PT6_ll16rocsparse_order_21rocsparse_index_base_b,"axG",@progbits,_ZN9rocsparseL31bsrmm_large_blockdim_kernel_extILj32ELj32ELj2EliddddEEvb20rocsparse_direction_T3_S2_llNS_24const_host_device_scalarIT7_EEPKT2_PKS2_PKT4_S2_PKT5_llS5_PT6_ll16rocsparse_order_21rocsparse_index_base_b,comdat
	.globl	_ZN9rocsparseL31bsrmm_large_blockdim_kernel_extILj32ELj32ELj2EliddddEEvb20rocsparse_direction_T3_S2_llNS_24const_host_device_scalarIT7_EEPKT2_PKS2_PKT4_S2_PKT5_llS5_PT6_ll16rocsparse_order_21rocsparse_index_base_b ; -- Begin function _ZN9rocsparseL31bsrmm_large_blockdim_kernel_extILj32ELj32ELj2EliddddEEvb20rocsparse_direction_T3_S2_llNS_24const_host_device_scalarIT7_EEPKT2_PKS2_PKT4_S2_PKT5_llS5_PT6_ll16rocsparse_order_21rocsparse_index_base_b
	.p2align	8
	.type	_ZN9rocsparseL31bsrmm_large_blockdim_kernel_extILj32ELj32ELj2EliddddEEvb20rocsparse_direction_T3_S2_llNS_24const_host_device_scalarIT7_EEPKT2_PKS2_PKT4_S2_PKT5_llS5_PT6_ll16rocsparse_order_21rocsparse_index_base_b,@function
_ZN9rocsparseL31bsrmm_large_blockdim_kernel_extILj32ELj32ELj2EliddddEEvb20rocsparse_direction_T3_S2_llNS_24const_host_device_scalarIT7_EEPKT2_PKS2_PKT4_S2_PKT5_llS5_PT6_ll16rocsparse_order_21rocsparse_index_base_b: ; @_ZN9rocsparseL31bsrmm_large_blockdim_kernel_extILj32ELj32ELj2EliddddEEvb20rocsparse_direction_T3_S2_llNS_24const_host_device_scalarIT7_EEPKT2_PKS2_PKT4_S2_PKT5_llS5_PT6_ll16rocsparse_order_21rocsparse_index_base_b
; %bb.0:
	s_load_dwordx4 s[16:19], s[0:1], 0x80
	s_load_dwordx2 s[10:11], s[0:1], 0x20
	s_load_dwordx2 s[6:7], s[0:1], 0x60
	s_mov_b32 s4, s3
	s_waitcnt lgkmcnt(0)
	s_bitcmp1_b32 s18, 0
	s_cselect_b64 s[12:13], -1, 0
	s_xor_b64 s[8:9], s[12:13], -1
	s_and_b64 vcc, exec, s[12:13]
	v_mov_b64_e32 v[4:5], s[10:11]
	s_cbranch_vccnz .LBB19_2
; %bb.1:
	v_mov_b64_e32 v[2:3], s[10:11]
	flat_load_dwordx2 v[4:5], v[2:3]
.LBB19_2:
	s_andn2_b64 vcc, exec, s[8:9]
	v_mov_b64_e32 v[6:7], s[6:7]
	s_cbranch_vccnz .LBB19_4
; %bb.3:
	v_mov_b64_e32 v[2:3], s[6:7]
	flat_load_dwordx2 v[6:7], v[2:3]
.LBB19_4:
	s_waitcnt vmcnt(0) lgkmcnt(0)
	v_cmp_neq_f64_e32 vcc, 0, v[4:5]
	v_cmp_neq_f64_e64 s[6:7], 1.0, v[6:7]
	s_mov_b64 s[28:29], 0
	s_or_b64 s[6:7], vcc, s[6:7]
	s_and_saveexec_b64 s[8:9], s[6:7]
	s_cbranch_execz .LBB19_51
; %bb.5:
	s_load_dwordx4 s[12:15], s[0:1], 0x0
	s_load_dwordx2 s[6:7], s[0:1], 0x28
	s_waitcnt lgkmcnt(0)
	s_cmp_lt_i32 s2, s14
	s_cselect_b64 s[18:19], -1, 0
	s_cmp_ge_i32 s2, s14
	s_cbranch_scc1 .LBB19_7
; %bb.6:
	s_ashr_i32 s3, s2, 31
	s_lshl_b64 s[8:9], s[2:3], 3
	s_add_u32 s8, s6, s8
	s_addc_u32 s9, s7, s9
	s_load_dwordx2 s[8:9], s[8:9], 0x0
	s_waitcnt lgkmcnt(0)
	s_sub_u32 s28, s8, s17
	s_subb_u32 s29, s9, 0
.LBB19_7:
	s_andn2_b64 vcc, exec, s[18:19]
	s_mov_b64 s[36:37], 0
	s_cbranch_vccnz .LBB19_9
; %bb.8:
	s_ashr_i32 s3, s2, 31
	s_lshl_b64 s[8:9], s[2:3], 3
	s_add_u32 s6, s6, s8
	s_addc_u32 s7, s7, s9
	s_load_dwordx2 s[6:7], s[6:7], 0x8
	s_waitcnt lgkmcnt(0)
	s_sub_u32 s36, s6, s17
	s_subb_u32 s37, s7, 0
.LBB19_9:
	s_load_dwordx2 s[30:31], s[0:1], 0x68
	s_load_dword s3, s[0:1], 0x40
	v_bfe_u32 v1, v0, 10, 10
	v_lshl_add_u32 v10, s4, 6, v1
	v_mov_b64_e32 v[2:3], s[36:37]
	v_add_u32_e32 v8, 32, v10
	v_and_b32_e32 v24, 0x3ff, v0
	v_cmp_ge_i64_e32 vcc, s[28:29], v[2:3]
	s_waitcnt lgkmcnt(0)
	v_cmp_gt_i32_e64 s[4:5], s3, v24
	v_cmp_gt_i32_e64 s[6:7], s15, v10
	;; [unrolled: 1-line block ×3, first 2 shown]
	s_cbranch_vccnz .LBB19_27
; %bb.10:
	s_load_dwordx4 s[20:23], s[0:1], 0x30
	s_load_dwordx4 s[24:27], s[0:1], 0x48
	v_cmp_gt_i32_e32 vcc, s3, v1
	v_lshlrev_b32_e32 v2, 3, v1
	v_lshlrev_b32_e32 v25, 8, v1
	v_mul_lo_u32 v0, s3, v1
	v_mov_b32_e32 v1, 0
	s_and_b64 s[34:35], s[4:5], vcc
	v_lshlrev_b32_e32 v18, 3, v24
	s_waitcnt lgkmcnt(0)
	v_lshl_add_u64 v[12:13], v[0:1], 3, s[22:23]
	v_mov_b32_e32 v19, v1
	v_mul_lo_u32 v0, s3, v24
	s_bitcmp1_b32 s12, 0
	v_lshl_add_u64 v[16:17], v[12:13], 0, v[18:19]
	v_lshl_add_u64 v[12:13], v[0:1], 3, s[22:23]
	v_mov_b32_e32 v3, v1
	v_ashrrev_i32_e32 v11, 31, v10
	s_cselect_b64 s[10:11], -1, 0
	v_or_b32_e32 v20, 0x4000, v2
	s_cmp_eq_u32 s13, 0
	v_lshl_add_u64 v[2:3], v[12:13], 0, v[2:3]
	v_mul_lo_u32 v0, s27, v10
	v_mul_lo_u32 v9, s26, v11
	v_mad_u64_u32 v[12:13], s[12:13], s26, v10, 0
	v_add3_u32 v13, v13, v9, v0
	v_ashrrev_i32_e32 v9, 31, v8
	v_lshlrev_b32_e32 v19, 8, v24
	v_mul_lo_u32 v0, s27, v8
	v_mul_lo_u32 v21, s26, v9
	v_mad_u64_u32 v[14:15], s[12:13], s26, v8, 0
	s_cselect_b64 vcc, -1, 0
	s_mul_i32 s14, s3, s3
	v_add3_u32 v15, v15, v21, v0
	v_cndmask_b32_e32 v17, v17, v3, vcc
	v_cndmask_b32_e32 v16, v16, v2, vcc
	v_add_u32_e32 v26, 0x4000, v19
	v_add_u32_e32 v27, 0x2000, v25
	v_mov_b32_e32 v0, v1
	v_mov_b32_e32 v2, v1
	;; [unrolled: 1-line block ×3, first 2 shown]
	v_add_u32_e32 v28, v18, v25
	v_add_u32_e32 v29, v20, v19
	v_mov_b64_e32 v[18:19], s[36:37]
	s_branch .LBB19_13
.LBB19_11:                              ;   in Loop: Header=BB19_13 Depth=1
	s_or_b64 exec, exec, s[22:23]
.LBB19_12:                              ;   in Loop: Header=BB19_13 Depth=1
	s_or_b64 exec, exec, s[12:13]
	s_add_u32 s28, s28, 1
	s_addc_u32 s29, s29, 0
	v_cmp_ge_i64_e32 vcc, s[28:29], v[18:19]
	s_barrier
	s_cbranch_vccnz .LBB19_28
.LBB19_13:                              ; =>This Loop Header: Depth=1
                                        ;     Child Loop BB19_23 Depth 2
                                        ;     Child Loop BB19_26 Depth 2
	s_and_saveexec_b64 s[12:13], s[4:5]
	s_cbranch_execz .LBB19_18
; %bb.14:                               ;   in Loop: Header=BB19_13 Depth=1
	s_lshl_b64 s[22:23], s[28:29], 2
	s_add_u32 s22, s20, s22
	s_addc_u32 s23, s21, s23
	s_load_dword s22, s[22:23], 0x0
	s_waitcnt lgkmcnt(0)
	s_sub_i32 s22, s22, s17
	s_mul_i32 s22, s22, s3
	v_add_u32_e32 v22, s22, v24
	v_ashrrev_i32_e32 v23, 31, v22
	v_mul_lo_u32 v30, s27, v22
	v_mad_u64_u32 v[20:21], s[22:23], s26, v22, 0
	v_mul_lo_u32 v31, s26, v23
	v_add3_u32 v21, v21, v31, v30
	v_lshl_add_u64 v[20:21], v[20:21], 3, s[24:25]
	v_lshl_add_u64 v[22:23], v[22:23], 3, s[24:25]
	s_and_saveexec_b64 s[22:23], s[6:7]
	s_cbranch_execz .LBB19_16
; %bb.15:                               ;   in Loop: Header=BB19_13 Depth=1
	v_lshl_add_u64 v[30:31], v[10:11], 3, v[20:21]
	v_lshl_add_u64 v[32:33], v[12:13], 3, v[22:23]
	v_cndmask_b32_e64 v31, v31, v33, s[10:11]
	v_cndmask_b32_e64 v30, v30, v32, s[10:11]
	global_load_dwordx2 v[30:31], v[30:31], off
	s_waitcnt vmcnt(0)
	ds_write_b64 v28, v[30:31]
.LBB19_16:                              ;   in Loop: Header=BB19_13 Depth=1
	s_or_b64 exec, exec, s[22:23]
	s_and_b64 exec, exec, s[8:9]
	s_cbranch_execz .LBB19_18
; %bb.17:                               ;   in Loop: Header=BB19_13 Depth=1
	v_lshl_add_u64 v[22:23], v[14:15], 3, v[22:23]
	v_lshl_add_u64 v[20:21], v[8:9], 3, v[20:21]
	v_cndmask_b32_e64 v21, v21, v23, s[10:11]
	v_cndmask_b32_e64 v20, v20, v22, s[10:11]
	global_load_dwordx2 v[20:21], v[20:21], off
	s_waitcnt vmcnt(0)
	ds_write_b64 v28, v[20:21] offset:8192
.LBB19_18:                              ;   in Loop: Header=BB19_13 Depth=1
	s_or_b64 exec, exec, s[12:13]
	s_and_saveexec_b64 s[12:13], s[34:35]
	s_cbranch_execz .LBB19_20
; %bb.19:                               ;   in Loop: Header=BB19_13 Depth=1
	s_mul_i32 s22, s29, s14
	s_mul_hi_u32 s23, s28, s14
	s_add_i32 s23, s23, s22
	s_mul_i32 s22, s28, s14
	v_lshl_add_u64 v[20:21], s[22:23], 3, v[16:17]
	global_load_dwordx2 v[20:21], v[20:21], off
	s_waitcnt vmcnt(0)
	ds_write_b64 v29, v[20:21]
.LBB19_20:                              ;   in Loop: Header=BB19_13 Depth=1
	s_or_b64 exec, exec, s[12:13]
	s_waitcnt lgkmcnt(0)
	s_barrier
	s_and_saveexec_b64 s[12:13], s[4:5]
	s_cbranch_execz .LBB19_12
; %bb.21:                               ;   in Loop: Header=BB19_13 Depth=1
	s_and_saveexec_b64 s[22:23], s[6:7]
	s_cbranch_execz .LBB19_24
; %bb.22:                               ;   in Loop: Header=BB19_13 Depth=1
	v_mov_b32_e32 v20, v26
	v_mov_b32_e32 v21, v25
	s_mov_b32 s33, s3
.LBB19_23:                              ;   Parent Loop BB19_13 Depth=1
                                        ; =>  This Inner Loop Header: Depth=2
	ds_read_b64 v[22:23], v20
	ds_read_b64 v[30:31], v21
	s_add_i32 s33, s33, -1
	v_add_u32_e32 v21, 8, v21
	v_add_u32_e32 v20, 8, v20
	s_cmp_lg_u32 s33, 0
	s_waitcnt lgkmcnt(0)
	v_fmac_f64_e32 v[0:1], v[22:23], v[30:31]
	s_cbranch_scc1 .LBB19_23
.LBB19_24:                              ;   in Loop: Header=BB19_13 Depth=1
	s_or_b64 exec, exec, s[22:23]
	s_and_saveexec_b64 s[22:23], s[8:9]
	s_cbranch_execz .LBB19_11
; %bb.25:                               ;   in Loop: Header=BB19_13 Depth=1
	v_mov_b32_e32 v20, v26
	s_mov_b32 s33, s3
	v_mov_b32_e32 v21, v27
.LBB19_26:                              ;   Parent Loop BB19_13 Depth=1
                                        ; =>  This Inner Loop Header: Depth=2
	ds_read_b64 v[22:23], v20
	ds_read_b64 v[30:31], v21
	s_add_i32 s33, s33, -1
	v_add_u32_e32 v21, 8, v21
	v_add_u32_e32 v20, 8, v20
	s_cmp_lg_u32 s33, 0
	s_waitcnt lgkmcnt(0)
	v_fmac_f64_e32 v[2:3], v[22:23], v[30:31]
	s_cbranch_scc1 .LBB19_26
	s_branch .LBB19_11
.LBB19_27:
	v_mov_b32_e32 v0, 0
	v_mov_b32_e32 v1, v0
	;; [unrolled: 1-line block ×4, first 2 shown]
.LBB19_28:
	s_and_b64 s[4:5], s[18:19], s[4:5]
	s_and_b64 exec, exec, s[4:5]
	s_cbranch_execz .LBB19_51
; %bb.29:
	s_load_dwordx2 s[4:5], s[0:1], 0x70
	s_mul_i32 s2, s3, s2
	v_add_u32_e32 v12, s2, v24
	v_ashrrev_i32_e32 v13, 31, v12
	s_cmp_lg_u32 s16, 1
	s_waitcnt lgkmcnt(0)
	v_mul_lo_u32 v9, s4, v13
	v_mul_lo_u32 v11, s5, v12
	v_mad_u64_u32 v[14:15], s[6:7], s4, v12, 0
	v_add3_u32 v15, v15, v9, v11
	v_cmp_neq_f64_e64 s[0:1], 0, v[6:7]
	s_cselect_b64 s[2:3], -1, 0
	v_lshl_add_u64 v[14:15], v[14:15], 3, s[30:31]
	v_lshl_add_u64 v[12:13], v[12:13], 3, s[30:31]
	v_cmp_gt_i32_e32 vcc, s15, v10
	s_and_saveexec_b64 s[6:7], vcc
	s_cbranch_execz .LBB19_40
; %bb.30:
	v_ashrrev_i32_e32 v11, 31, v10
	s_and_saveexec_b64 s[8:9], s[0:1]
	s_xor_b64 s[8:9], exec, s[8:9]
	s_cbranch_execz .LBB19_35
; %bb.31:
	s_mov_b64 s[10:11], -1
	s_and_b64 vcc, exec, s[2:3]
	s_cbranch_vccz .LBB19_33
; %bb.32:
	v_lshl_add_u64 v[16:17], v[10:11], 3, v[14:15]
	global_load_dwordx2 v[18:19], v[16:17], off
	v_mul_f64 v[20:21], v[4:5], v[0:1]
	s_mov_b64 s[10:11], 0
	s_waitcnt vmcnt(0)
	v_fmac_f64_e32 v[20:21], v[6:7], v[18:19]
	global_store_dwordx2 v[16:17], v[20:21], off
.LBB19_33:
	s_andn2_b64 vcc, exec, s[10:11]
	s_cbranch_vccnz .LBB19_35
; %bb.34:
	v_mul_lo_u32 v9, s5, v10
	v_mul_lo_u32 v16, s4, v11
	v_mad_u64_u32 v[10:11], s[10:11], s4, v10, 0
	v_add3_u32 v11, v11, v16, v9
	v_lshl_add_u64 v[10:11], v[10:11], 3, v[12:13]
	global_load_dwordx2 v[16:17], v[10:11], off
	v_mul_f64 v[18:19], v[4:5], v[0:1]
	s_waitcnt vmcnt(0)
	v_fmac_f64_e32 v[18:19], v[6:7], v[16:17]
	global_store_dwordx2 v[10:11], v[18:19], off
                                        ; implicit-def: $vgpr10
.LBB19_35:
	s_andn2_saveexec_b64 s[8:9], s[8:9]
	s_cbranch_execz .LBB19_40
; %bb.36:
	v_mul_f64 v[0:1], v[4:5], v[0:1]
	s_mov_b64 s[8:9], -1
	s_and_b64 vcc, exec, s[2:3]
	s_cbranch_vccz .LBB19_38
; %bb.37:
	v_lshl_add_u64 v[16:17], v[10:11], 3, v[14:15]
	global_store_dwordx2 v[16:17], v[0:1], off
	s_mov_b64 s[8:9], 0
.LBB19_38:
	s_andn2_b64 vcc, exec, s[8:9]
	s_cbranch_vccnz .LBB19_40
; %bb.39:
	v_mul_lo_u32 v9, s5, v10
	v_mul_lo_u32 v16, s4, v11
	v_mad_u64_u32 v[10:11], s[8:9], s4, v10, 0
	v_add3_u32 v11, v11, v16, v9
	v_lshl_add_u64 v[10:11], v[10:11], 3, v[12:13]
	global_store_dwordx2 v[10:11], v[0:1], off
.LBB19_40:
	s_or_b64 exec, exec, s[6:7]
	v_cmp_gt_i32_e32 vcc, s15, v8
	s_and_b64 exec, exec, vcc
	s_cbranch_execz .LBB19_51
; %bb.41:
	v_cndmask_b32_e64 v0, 0, 1, s[2:3]
	v_ashrrev_i32_e32 v9, 31, v8
	v_cmp_ne_u32_e64 s[2:3], 1, v0
	s_and_saveexec_b64 s[6:7], s[0:1]
	s_xor_b64 s[0:1], exec, s[6:7]
	s_cbranch_execz .LBB19_46
; %bb.42:
	s_and_b64 vcc, exec, s[2:3]
	s_mov_b64 s[6:7], -1
	s_cbranch_vccnz .LBB19_44
; %bb.43:
	v_lshl_add_u64 v[0:1], v[8:9], 3, v[14:15]
	global_load_dwordx2 v[10:11], v[0:1], off
	v_mul_f64 v[14:15], v[4:5], v[2:3]
	s_mov_b64 s[6:7], 0
	s_waitcnt vmcnt(0)
	v_fmac_f64_e32 v[14:15], v[6:7], v[10:11]
	global_store_dwordx2 v[0:1], v[14:15], off
.LBB19_44:
	s_andn2_b64 vcc, exec, s[6:7]
                                        ; implicit-def: $vgpr14_vgpr15
	s_cbranch_vccnz .LBB19_46
; %bb.45:
	v_mul_lo_u32 v10, s5, v8
	v_mul_lo_u32 v9, s4, v9
	v_mad_u64_u32 v[0:1], s[6:7], s4, v8, 0
	v_add3_u32 v1, v1, v9, v10
	v_lshl_add_u64 v[0:1], v[0:1], 3, v[12:13]
	global_load_dwordx2 v[8:9], v[0:1], off
	v_mul_f64 v[2:3], v[4:5], v[2:3]
                                        ; implicit-def: $vgpr12_vgpr13
                                        ; implicit-def: $vgpr4_vgpr5
                                        ; implicit-def: $vgpr14_vgpr15
	s_waitcnt vmcnt(0)
	v_fmac_f64_e32 v[2:3], v[6:7], v[8:9]
	global_store_dwordx2 v[0:1], v[2:3], off
                                        ; implicit-def: $vgpr0_vgpr1_vgpr2_vgpr3
                                        ; implicit-def: $vgpr8
.LBB19_46:
	s_andn2_saveexec_b64 s[0:1], s[0:1]
	s_cbranch_execz .LBB19_51
; %bb.47:
	v_mul_f64 v[0:1], v[4:5], v[2:3]
	s_and_b64 vcc, exec, s[2:3]
	s_mov_b64 s[0:1], -1
	s_cbranch_vccnz .LBB19_49
; %bb.48:
	v_lshl_add_u64 v[2:3], v[8:9], 3, v[14:15]
	s_mov_b64 s[0:1], 0
	global_store_dwordx2 v[2:3], v[0:1], off
.LBB19_49:
	s_andn2_b64 vcc, exec, s[0:1]
	s_cbranch_vccnz .LBB19_51
; %bb.50:
	v_mul_lo_u32 v4, s5, v8
	v_mul_lo_u32 v5, s4, v9
	v_mad_u64_u32 v[2:3], s[0:1], s4, v8, 0
	v_add3_u32 v3, v3, v5, v4
	v_lshl_add_u64 v[2:3], v[2:3], 3, v[12:13]
	global_store_dwordx2 v[2:3], v[0:1], off
.LBB19_51:
	s_endpgm
	.section	.rodata,"a",@progbits
	.p2align	6, 0x0
	.amdhsa_kernel _ZN9rocsparseL31bsrmm_large_blockdim_kernel_extILj32ELj32ELj2EliddddEEvb20rocsparse_direction_T3_S2_llNS_24const_host_device_scalarIT7_EEPKT2_PKS2_PKT4_S2_PKT5_llS5_PT6_ll16rocsparse_order_21rocsparse_index_base_b
		.amdhsa_group_segment_fixed_size 24576
		.amdhsa_private_segment_fixed_size 0
		.amdhsa_kernarg_size 140
		.amdhsa_user_sgpr_count 2
		.amdhsa_user_sgpr_dispatch_ptr 0
		.amdhsa_user_sgpr_queue_ptr 0
		.amdhsa_user_sgpr_kernarg_segment_ptr 1
		.amdhsa_user_sgpr_dispatch_id 0
		.amdhsa_user_sgpr_kernarg_preload_length 0
		.amdhsa_user_sgpr_kernarg_preload_offset 0
		.amdhsa_user_sgpr_private_segment_size 0
		.amdhsa_uses_dynamic_stack 0
		.amdhsa_enable_private_segment 0
		.amdhsa_system_sgpr_workgroup_id_x 1
		.amdhsa_system_sgpr_workgroup_id_y 1
		.amdhsa_system_sgpr_workgroup_id_z 0
		.amdhsa_system_sgpr_workgroup_info 0
		.amdhsa_system_vgpr_workitem_id 1
		.amdhsa_next_free_vgpr 34
		.amdhsa_next_free_sgpr 38
		.amdhsa_accum_offset 36
		.amdhsa_reserve_vcc 1
		.amdhsa_float_round_mode_32 0
		.amdhsa_float_round_mode_16_64 0
		.amdhsa_float_denorm_mode_32 3
		.amdhsa_float_denorm_mode_16_64 3
		.amdhsa_dx10_clamp 1
		.amdhsa_ieee_mode 1
		.amdhsa_fp16_overflow 0
		.amdhsa_tg_split 0
		.amdhsa_exception_fp_ieee_invalid_op 0
		.amdhsa_exception_fp_denorm_src 0
		.amdhsa_exception_fp_ieee_div_zero 0
		.amdhsa_exception_fp_ieee_overflow 0
		.amdhsa_exception_fp_ieee_underflow 0
		.amdhsa_exception_fp_ieee_inexact 0
		.amdhsa_exception_int_div_zero 0
	.end_amdhsa_kernel
	.section	.text._ZN9rocsparseL31bsrmm_large_blockdim_kernel_extILj32ELj32ELj2EliddddEEvb20rocsparse_direction_T3_S2_llNS_24const_host_device_scalarIT7_EEPKT2_PKS2_PKT4_S2_PKT5_llS5_PT6_ll16rocsparse_order_21rocsparse_index_base_b,"axG",@progbits,_ZN9rocsparseL31bsrmm_large_blockdim_kernel_extILj32ELj32ELj2EliddddEEvb20rocsparse_direction_T3_S2_llNS_24const_host_device_scalarIT7_EEPKT2_PKS2_PKT4_S2_PKT5_llS5_PT6_ll16rocsparse_order_21rocsparse_index_base_b,comdat
.Lfunc_end19:
	.size	_ZN9rocsparseL31bsrmm_large_blockdim_kernel_extILj32ELj32ELj2EliddddEEvb20rocsparse_direction_T3_S2_llNS_24const_host_device_scalarIT7_EEPKT2_PKS2_PKT4_S2_PKT5_llS5_PT6_ll16rocsparse_order_21rocsparse_index_base_b, .Lfunc_end19-_ZN9rocsparseL31bsrmm_large_blockdim_kernel_extILj32ELj32ELj2EliddddEEvb20rocsparse_direction_T3_S2_llNS_24const_host_device_scalarIT7_EEPKT2_PKS2_PKT4_S2_PKT5_llS5_PT6_ll16rocsparse_order_21rocsparse_index_base_b
                                        ; -- End function
	.set _ZN9rocsparseL31bsrmm_large_blockdim_kernel_extILj32ELj32ELj2EliddddEEvb20rocsparse_direction_T3_S2_llNS_24const_host_device_scalarIT7_EEPKT2_PKS2_PKT4_S2_PKT5_llS5_PT6_ll16rocsparse_order_21rocsparse_index_base_b.num_vgpr, 34
	.set _ZN9rocsparseL31bsrmm_large_blockdim_kernel_extILj32ELj32ELj2EliddddEEvb20rocsparse_direction_T3_S2_llNS_24const_host_device_scalarIT7_EEPKT2_PKS2_PKT4_S2_PKT5_llS5_PT6_ll16rocsparse_order_21rocsparse_index_base_b.num_agpr, 0
	.set _ZN9rocsparseL31bsrmm_large_blockdim_kernel_extILj32ELj32ELj2EliddddEEvb20rocsparse_direction_T3_S2_llNS_24const_host_device_scalarIT7_EEPKT2_PKS2_PKT4_S2_PKT5_llS5_PT6_ll16rocsparse_order_21rocsparse_index_base_b.numbered_sgpr, 38
	.set _ZN9rocsparseL31bsrmm_large_blockdim_kernel_extILj32ELj32ELj2EliddddEEvb20rocsparse_direction_T3_S2_llNS_24const_host_device_scalarIT7_EEPKT2_PKS2_PKT4_S2_PKT5_llS5_PT6_ll16rocsparse_order_21rocsparse_index_base_b.num_named_barrier, 0
	.set _ZN9rocsparseL31bsrmm_large_blockdim_kernel_extILj32ELj32ELj2EliddddEEvb20rocsparse_direction_T3_S2_llNS_24const_host_device_scalarIT7_EEPKT2_PKS2_PKT4_S2_PKT5_llS5_PT6_ll16rocsparse_order_21rocsparse_index_base_b.private_seg_size, 0
	.set _ZN9rocsparseL31bsrmm_large_blockdim_kernel_extILj32ELj32ELj2EliddddEEvb20rocsparse_direction_T3_S2_llNS_24const_host_device_scalarIT7_EEPKT2_PKS2_PKT4_S2_PKT5_llS5_PT6_ll16rocsparse_order_21rocsparse_index_base_b.uses_vcc, 1
	.set _ZN9rocsparseL31bsrmm_large_blockdim_kernel_extILj32ELj32ELj2EliddddEEvb20rocsparse_direction_T3_S2_llNS_24const_host_device_scalarIT7_EEPKT2_PKS2_PKT4_S2_PKT5_llS5_PT6_ll16rocsparse_order_21rocsparse_index_base_b.uses_flat_scratch, 0
	.set _ZN9rocsparseL31bsrmm_large_blockdim_kernel_extILj32ELj32ELj2EliddddEEvb20rocsparse_direction_T3_S2_llNS_24const_host_device_scalarIT7_EEPKT2_PKS2_PKT4_S2_PKT5_llS5_PT6_ll16rocsparse_order_21rocsparse_index_base_b.has_dyn_sized_stack, 0
	.set _ZN9rocsparseL31bsrmm_large_blockdim_kernel_extILj32ELj32ELj2EliddddEEvb20rocsparse_direction_T3_S2_llNS_24const_host_device_scalarIT7_EEPKT2_PKS2_PKT4_S2_PKT5_llS5_PT6_ll16rocsparse_order_21rocsparse_index_base_b.has_recursion, 0
	.set _ZN9rocsparseL31bsrmm_large_blockdim_kernel_extILj32ELj32ELj2EliddddEEvb20rocsparse_direction_T3_S2_llNS_24const_host_device_scalarIT7_EEPKT2_PKS2_PKT4_S2_PKT5_llS5_PT6_ll16rocsparse_order_21rocsparse_index_base_b.has_indirect_call, 0
	.section	.AMDGPU.csdata,"",@progbits
; Kernel info:
; codeLenInByte = 1720
; TotalNumSgprs: 44
; NumVgprs: 34
; NumAgprs: 0
; TotalNumVgprs: 34
; ScratchSize: 0
; MemoryBound: 0
; FloatMode: 240
; IeeeMode: 1
; LDSByteSize: 24576 bytes/workgroup (compile time only)
; SGPRBlocks: 5
; VGPRBlocks: 4
; NumSGPRsForWavesPerEU: 44
; NumVGPRsForWavesPerEU: 34
; AccumOffset: 36
; Occupancy: 8
; WaveLimiterHint : 1
; COMPUTE_PGM_RSRC2:SCRATCH_EN: 0
; COMPUTE_PGM_RSRC2:USER_SGPR: 2
; COMPUTE_PGM_RSRC2:TRAP_HANDLER: 0
; COMPUTE_PGM_RSRC2:TGID_X_EN: 1
; COMPUTE_PGM_RSRC2:TGID_Y_EN: 1
; COMPUTE_PGM_RSRC2:TGID_Z_EN: 0
; COMPUTE_PGM_RSRC2:TIDIG_COMP_CNT: 1
; COMPUTE_PGM_RSRC3_GFX90A:ACCUM_OFFSET: 8
; COMPUTE_PGM_RSRC3_GFX90A:TG_SPLIT: 0
	.section	.text._ZN9rocsparseL31bsrmm_large_blockdim_kernel_extILj8ELj8ELj2EllddddEEvb20rocsparse_direction_T3_S2_llNS_24const_host_device_scalarIT7_EEPKT2_PKS2_PKT4_S2_PKT5_llS5_PT6_ll16rocsparse_order_21rocsparse_index_base_b,"axG",@progbits,_ZN9rocsparseL31bsrmm_large_blockdim_kernel_extILj8ELj8ELj2EllddddEEvb20rocsparse_direction_T3_S2_llNS_24const_host_device_scalarIT7_EEPKT2_PKS2_PKT4_S2_PKT5_llS5_PT6_ll16rocsparse_order_21rocsparse_index_base_b,comdat
	.globl	_ZN9rocsparseL31bsrmm_large_blockdim_kernel_extILj8ELj8ELj2EllddddEEvb20rocsparse_direction_T3_S2_llNS_24const_host_device_scalarIT7_EEPKT2_PKS2_PKT4_S2_PKT5_llS5_PT6_ll16rocsparse_order_21rocsparse_index_base_b ; -- Begin function _ZN9rocsparseL31bsrmm_large_blockdim_kernel_extILj8ELj8ELj2EllddddEEvb20rocsparse_direction_T3_S2_llNS_24const_host_device_scalarIT7_EEPKT2_PKS2_PKT4_S2_PKT5_llS5_PT6_ll16rocsparse_order_21rocsparse_index_base_b
	.p2align	8
	.type	_ZN9rocsparseL31bsrmm_large_blockdim_kernel_extILj8ELj8ELj2EllddddEEvb20rocsparse_direction_T3_S2_llNS_24const_host_device_scalarIT7_EEPKT2_PKS2_PKT4_S2_PKT5_llS5_PT6_ll16rocsparse_order_21rocsparse_index_base_b,@function
_ZN9rocsparseL31bsrmm_large_blockdim_kernel_extILj8ELj8ELj2EllddddEEvb20rocsparse_direction_T3_S2_llNS_24const_host_device_scalarIT7_EEPKT2_PKS2_PKT4_S2_PKT5_llS5_PT6_ll16rocsparse_order_21rocsparse_index_base_b: ; @_ZN9rocsparseL31bsrmm_large_blockdim_kernel_extILj8ELj8ELj2EllddddEEvb20rocsparse_direction_T3_S2_llNS_24const_host_device_scalarIT7_EEPKT2_PKS2_PKT4_S2_PKT5_llS5_PT6_ll16rocsparse_order_21rocsparse_index_base_b
; %bb.0:
	s_load_dwordx4 s[16:19], s[0:1], 0x88
	s_load_dwordx2 s[10:11], s[0:1], 0x28
	s_load_dwordx2 s[4:5], s[0:1], 0x68
	s_mov_b32 s6, s3
	s_waitcnt lgkmcnt(0)
	s_bitcmp1_b32 s18, 0
	s_cselect_b64 s[12:13], -1, 0
	s_xor_b64 s[8:9], s[12:13], -1
	s_and_b64 vcc, exec, s[12:13]
	v_mov_b64_e32 v[4:5], s[10:11]
	s_cbranch_vccnz .LBB20_2
; %bb.1:
	v_mov_b64_e32 v[2:3], s[10:11]
	flat_load_dwordx2 v[4:5], v[2:3]
.LBB20_2:
	s_andn2_b64 vcc, exec, s[8:9]
	v_mov_b64_e32 v[6:7], s[4:5]
	s_cbranch_vccnz .LBB20_4
; %bb.3:
	v_mov_b64_e32 v[2:3], s[4:5]
	flat_load_dwordx2 v[6:7], v[2:3]
.LBB20_4:
	s_waitcnt vmcnt(0) lgkmcnt(0)
	v_cmp_neq_f64_e32 vcc, 0, v[4:5]
	v_cmp_neq_f64_e64 s[4:5], 1.0, v[6:7]
	s_mov_b64 s[18:19], 0
	s_or_b64 s[4:5], vcc, s[4:5]
	s_and_saveexec_b64 s[8:9], s[4:5]
	s_cbranch_execz .LBB20_51
; %bb.5:
	s_load_dwordx4 s[12:15], s[0:1], 0x8
	s_load_dwordx2 s[8:9], s[0:1], 0x30
	s_ashr_i32 s3, s2, 31
	v_mov_b64_e32 v[2:3], s[2:3]
	s_waitcnt lgkmcnt(0)
	v_cmp_le_i64_e32 vcc, s[12:13], v[2:3]
	v_cmp_gt_i64_e64 s[4:5], s[12:13], v[2:3]
	s_cbranch_vccnz .LBB20_7
; %bb.6:
	s_lshl_b64 s[10:11], s[2:3], 3
	s_add_u32 s10, s8, s10
	s_addc_u32 s11, s9, s11
	s_load_dwordx2 s[10:11], s[10:11], 0x0
	s_waitcnt lgkmcnt(0)
	s_sub_u32 s18, s10, s17
	s_subb_u32 s19, s11, 0
.LBB20_7:
	s_andn2_b64 vcc, exec, s[4:5]
	s_mov_b64 s[34:35], 0
	s_cbranch_vccnz .LBB20_9
; %bb.8:
	s_lshl_b64 s[10:11], s[2:3], 3
	s_add_u32 s8, s8, s10
	s_addc_u32 s9, s9, s11
	s_load_dwordx2 s[8:9], s[8:9], 0x8
	s_waitcnt lgkmcnt(0)
	s_sub_u32 s34, s8, s17
	s_subb_u32 s35, s9, 0
.LBB20_9:
	s_load_dwordx2 s[28:29], s[0:1], 0x70
	s_load_dwordx2 s[30:31], s[0:1], 0x48
	v_bfe_u32 v2, v0, 10, 10
	v_lshl_add_u32 v10, s6, 4, v2
	v_mov_b32_e32 v11, 0
	v_mov_b64_e32 v[12:13], s[34:35]
	v_add_u32_e32 v8, 8, v10
	v_mov_b32_e32 v9, v11
	v_and_b32_e32 v0, 0x3ff, v0
	v_mov_b32_e32 v1, v11
	v_cmp_ge_i64_e32 vcc, s[18:19], v[12:13]
	s_waitcnt lgkmcnt(0)
	v_cmp_gt_i64_e64 s[6:7], s[30:31], v[0:1]
	v_cmp_gt_i64_e64 s[8:9], s[14:15], v[10:11]
	v_cmp_gt_i64_e64 s[10:11], s[14:15], v[8:9]
	s_cbranch_vccnz .LBB20_27
; %bb.10:
	s_load_dwordx4 s[24:27], s[0:1], 0x38
	s_load_dwordx2 s[38:39], s[0:1], 0x0
	s_mul_i32 s3, s30, s31
	s_mul_hi_u32 s12, s30, s30
	v_mov_b32_e32 v3, v11
	s_add_i32 s12, s12, s3
	v_cmp_gt_i64_e32 vcc, s[30:31], v[2:3]
	s_add_i32 s3, s12, s3
	s_and_b64 s[36:37], s[6:7], vcc
	s_waitcnt lgkmcnt(0)
	s_bitcmp1_b32 s38, 0
	s_cselect_b64 s[12:13], -1, 0
	s_cmp_eq_u32 s39, 0
	v_mad_u64_u32 v[16:17], s[38:39], s30, v2, 0
	v_mov_b32_e32 v18, v17
	v_lshlrev_b32_e32 v12, 3, v2
	v_lshlrev_b32_e32 v26, 6, v2
	v_mad_u64_u32 v[2:3], s[38:39], s31, v2, v[18:19]
	v_mov_b32_e32 v17, v2
	s_load_dwordx4 s[20:23], s[0:1], 0x50
	v_lshl_add_u64 v[2:3], v[16:17], 3, s[26:27]
	v_mad_u64_u32 v[16:17], s[38:39], s30, v0, 0
	v_mov_b32_e32 v18, v17
	v_mad_u64_u32 v[18:19], s[38:39], s31, v0, v[18:19]
	v_mov_b32_e32 v17, v18
	v_lshl_add_u64 v[16:17], v[16:17], 3, s[26:27]
	v_mov_b32_e32 v13, v11
	v_add_u32_e32 v24, 0x400, v12
	v_lshl_add_u64 v[12:13], v[16:17], 0, v[12:13]
	s_waitcnt lgkmcnt(0)
	v_mad_u64_u32 v[16:17], s[26:27], s22, v10, 0
	v_mov_b32_e32 v18, v17
	v_mad_u64_u32 v[18:19], s[26:27], s23, v10, v[18:19]
	v_mov_b32_e32 v17, v18
	v_mad_u64_u32 v[18:19], s[26:27], s22, v8, 0
	v_lshlrev_b32_e32 v22, 3, v0
	v_mov_b32_e32 v23, v11
	v_mov_b32_e32 v20, v19
	v_lshl_add_u64 v[14:15], s[20:21], 0, v[22:23]
	v_lshl_add_u64 v[2:3], v[2:3], 0, v[22:23]
	s_cselect_b64 vcc, -1, 0
	v_lshlrev_b32_e32 v23, 6, v0
	v_cmp_gt_i64_e64 s[38:39], s[30:31], 0
	v_mad_u64_u32 v[20:21], s[26:27], s23, v8, v[20:21]
	s_mul_i32 s33, s30, s30
	v_mov_b32_e32 v19, v20
	s_and_b64 s[26:27], s[8:9], s[38:39]
	s_and_b64 s[38:39], s[10:11], s[38:39]
	v_cndmask_b32_e32 v21, v3, v13, vcc
	v_cndmask_b32_e32 v20, v2, v12, vcc
	v_add_u32_e32 v27, 0x400, v23
	v_add_u32_e32 v28, 0x200, v26
	v_mov_b32_e32 v12, v11
	v_mov_b32_e32 v13, v11
	;; [unrolled: 1-line block ×4, first 2 shown]
	v_add_u32_e32 v29, v24, v23
	v_add_u32_e32 v30, v22, v26
	s_branch .LBB20_13
.LBB20_11:                              ;   in Loop: Header=BB20_13 Depth=1
	s_or_b64 exec, exec, s[42:43]
.LBB20_12:                              ;   in Loop: Header=BB20_13 Depth=1
	s_or_b64 exec, exec, s[40:41]
	s_add_u32 s18, s18, 1
	s_addc_u32 s19, s19, 0
	v_mov_b64_e32 v[22:23], s[34:35]
	v_cmp_ge_i64_e32 vcc, s[18:19], v[22:23]
	; wave barrier
	s_cbranch_vccnz .LBB20_28
.LBB20_13:                              ; =>This Loop Header: Depth=1
                                        ;     Child Loop BB20_23 Depth 2
                                        ;     Child Loop BB20_26 Depth 2
	s_and_saveexec_b64 s[40:41], s[6:7]
	s_cbranch_execz .LBB20_18
; %bb.14:                               ;   in Loop: Header=BB20_13 Depth=1
	s_lshl_b64 s[42:43], s[18:19], 3
	s_add_u32 s42, s24, s42
	s_addc_u32 s43, s25, s43
	s_load_dwordx2 s[42:43], s[42:43], 0x0
	v_mov_b32_e32 v22, s30
	s_waitcnt lgkmcnt(0)
	s_sub_u32 s44, s42, s17
	s_subb_u32 s43, s43, 0
	s_mul_i32 s46, s44, s31
	s_mul_i32 s43, s43, s30
	s_mul_hi_u32 s45, s44, s30
	s_add_i32 s46, s46, s43
	s_mul_i32 s42, s44, s30
	s_add_i32 s43, s46, s45
	v_mad_u64_u32 v[22:23], s[44:45], s44, v22, v[0:1]
	v_add_u32_e32 v23, s46, v23
	v_mul_lo_u32 v24, v23, s22
	v_mul_lo_u32 v25, v22, s23
	v_mad_u64_u32 v[22:23], s[44:45], v22, s22, 0
	v_add3_u32 v23, v23, v25, v24
	v_lshl_add_u64 v[22:23], v[22:23], 3, s[20:21]
	v_lshl_add_u64 v[24:25], s[42:43], 3, v[14:15]
	s_and_saveexec_b64 s[42:43], s[8:9]
	s_cbranch_execz .LBB20_16
; %bb.15:                               ;   in Loop: Header=BB20_13 Depth=1
	v_lshl_add_u64 v[32:33], v[10:11], 3, v[22:23]
	v_lshl_add_u64 v[34:35], v[16:17], 3, v[24:25]
	v_cndmask_b32_e64 v33, v33, v35, s[12:13]
	v_cndmask_b32_e64 v32, v32, v34, s[12:13]
	global_load_dwordx2 v[32:33], v[32:33], off
	s_waitcnt vmcnt(0)
	ds_write_b64 v30, v[32:33]
.LBB20_16:                              ;   in Loop: Header=BB20_13 Depth=1
	s_or_b64 exec, exec, s[42:43]
	s_and_b64 exec, exec, s[10:11]
	s_cbranch_execz .LBB20_18
; %bb.17:                               ;   in Loop: Header=BB20_13 Depth=1
	v_lshl_add_u64 v[24:25], v[18:19], 3, v[24:25]
	v_lshl_add_u64 v[22:23], v[8:9], 3, v[22:23]
	v_cndmask_b32_e64 v23, v23, v25, s[12:13]
	v_cndmask_b32_e64 v22, v22, v24, s[12:13]
	global_load_dwordx2 v[22:23], v[22:23], off
	s_waitcnt vmcnt(0)
	ds_write_b64 v30, v[22:23] offset:512
.LBB20_18:                              ;   in Loop: Header=BB20_13 Depth=1
	s_or_b64 exec, exec, s[40:41]
	s_and_saveexec_b64 s[40:41], s[36:37]
	s_cbranch_execz .LBB20_20
; %bb.19:                               ;   in Loop: Header=BB20_13 Depth=1
	s_mul_i32 s42, s33, s19
	s_mul_hi_u32 s43, s33, s18
	s_add_i32 s42, s43, s42
	s_mul_i32 s43, s3, s18
	s_add_i32 s43, s42, s43
	s_mul_i32 s42, s33, s18
	v_lshl_add_u64 v[22:23], s[42:43], 3, v[20:21]
	global_load_dwordx2 v[22:23], v[22:23], off
	s_waitcnt vmcnt(0)
	ds_write_b64 v29, v[22:23]
.LBB20_20:                              ;   in Loop: Header=BB20_13 Depth=1
	s_or_b64 exec, exec, s[40:41]
	s_waitcnt lgkmcnt(0)
	; wave barrier
	s_and_saveexec_b64 s[40:41], s[6:7]
	s_cbranch_execz .LBB20_12
; %bb.21:                               ;   in Loop: Header=BB20_13 Depth=1
	s_and_saveexec_b64 s[42:43], s[26:27]
	s_cbranch_execz .LBB20_24
; %bb.22:                               ;   in Loop: Header=BB20_13 Depth=1
	v_mov_b32_e32 v22, v27
	v_mov_b32_e32 v23, v26
	s_mov_b64 s[44:45], s[30:31]
.LBB20_23:                              ;   Parent Loop BB20_13 Depth=1
                                        ; =>  This Inner Loop Header: Depth=2
	ds_read_b64 v[24:25], v22
	ds_read_b64 v[32:33], v23
	s_add_u32 s44, s44, -1
	s_addc_u32 s45, s45, -1
	v_add_u32_e32 v23, 8, v23
	v_add_u32_e32 v22, 8, v22
	s_cmp_lg_u64 s[44:45], 0
	s_waitcnt lgkmcnt(0)
	v_fmac_f64_e32 v[12:13], v[24:25], v[32:33]
	s_cbranch_scc1 .LBB20_23
.LBB20_24:                              ;   in Loop: Header=BB20_13 Depth=1
	s_or_b64 exec, exec, s[42:43]
	s_and_saveexec_b64 s[42:43], s[38:39]
	s_cbranch_execz .LBB20_11
; %bb.25:                               ;   in Loop: Header=BB20_13 Depth=1
	v_mov_b32_e32 v22, v27
	v_mov_b32_e32 v23, v28
	s_mov_b64 s[44:45], s[30:31]
.LBB20_26:                              ;   Parent Loop BB20_13 Depth=1
                                        ; =>  This Inner Loop Header: Depth=2
	ds_read_b64 v[24:25], v22
	ds_read_b64 v[32:33], v23
	s_add_u32 s44, s44, -1
	s_addc_u32 s45, s45, -1
	v_add_u32_e32 v23, 8, v23
	v_add_u32_e32 v22, 8, v22
	s_cmp_lg_u64 s[44:45], 0
	s_waitcnt lgkmcnt(0)
	v_fmac_f64_e32 v[2:3], v[24:25], v[32:33]
	s_cbranch_scc1 .LBB20_26
	s_branch .LBB20_11
.LBB20_27:
	v_mov_b32_e32 v12, v11
	v_mov_b32_e32 v13, v11
	v_mov_b32_e32 v2, v11
	v_mov_b32_e32 v3, v11
.LBB20_28:
	s_and_b64 s[4:5], s[4:5], s[6:7]
	s_and_b64 exec, exec, s[4:5]
	s_cbranch_execz .LBB20_51
; %bb.29:
	v_mov_b32_e32 v14, s2
	v_mad_u64_u32 v[14:15], s[4:5], s30, v14, v[0:1]
	s_load_dwordx2 s[4:5], s[0:1], 0x78
	s_mul_i32 s2, s31, s2
	v_add_u32_e32 v15, s2, v15
	s_cmp_lg_u32 s16, 1
	v_cmp_neq_f64_e64 s[0:1], 0, v[6:7]
	s_waitcnt lgkmcnt(0)
	v_mul_lo_u32 v16, s5, v14
	v_mul_lo_u32 v17, s4, v15
	v_mad_u64_u32 v[0:1], s[6:7], s4, v14, 0
	v_add3_u32 v1, v1, v17, v16
	s_cselect_b64 s[2:3], -1, 0
	v_lshl_add_u64 v[0:1], v[0:1], 3, s[28:29]
	v_lshl_add_u64 v[14:15], v[14:15], 3, s[28:29]
	v_cmp_gt_i64_e32 vcc, s[14:15], v[10:11]
	s_and_saveexec_b64 s[6:7], vcc
	s_cbranch_execz .LBB20_40
; %bb.30:
	s_and_saveexec_b64 s[8:9], s[0:1]
	s_xor_b64 s[8:9], exec, s[8:9]
	s_cbranch_execz .LBB20_35
; %bb.31:
	s_mov_b64 s[10:11], -1
	s_and_b64 vcc, exec, s[2:3]
	s_cbranch_vccz .LBB20_33
; %bb.32:
	v_lshl_add_u64 v[16:17], v[10:11], 3, v[0:1]
	global_load_dwordx2 v[18:19], v[16:17], off
	v_mul_f64 v[20:21], v[4:5], v[12:13]
	s_mov_b64 s[10:11], 0
	s_waitcnt vmcnt(0)
	v_fmac_f64_e32 v[20:21], v[6:7], v[18:19]
	global_store_dwordx2 v[16:17], v[20:21], off
.LBB20_33:
	s_andn2_b64 vcc, exec, s[10:11]
	s_cbranch_vccnz .LBB20_35
; %bb.34:
	v_mad_u64_u32 v[16:17], s[10:11], s4, v10, 0
	v_mov_b32_e32 v18, v17
	v_mad_u64_u32 v[10:11], s[10:11], s5, v10, v[18:19]
	v_mov_b32_e32 v17, v10
	v_lshl_add_u64 v[10:11], v[16:17], 3, v[14:15]
	global_load_dwordx2 v[16:17], v[10:11], off
	v_mul_f64 v[18:19], v[4:5], v[12:13]
	s_waitcnt vmcnt(0)
	v_fmac_f64_e32 v[18:19], v[6:7], v[16:17]
	global_store_dwordx2 v[10:11], v[18:19], off
                                        ; implicit-def: $vgpr10_vgpr11
.LBB20_35:
	s_andn2_saveexec_b64 s[8:9], s[8:9]
	s_cbranch_execz .LBB20_40
; %bb.36:
	v_mul_f64 v[12:13], v[4:5], v[12:13]
	s_mov_b64 s[8:9], -1
	s_and_b64 vcc, exec, s[2:3]
	s_cbranch_vccz .LBB20_38
; %bb.37:
	v_lshl_add_u64 v[16:17], v[10:11], 3, v[0:1]
	global_store_dwordx2 v[16:17], v[12:13], off
	s_mov_b64 s[8:9], 0
.LBB20_38:
	s_andn2_b64 vcc, exec, s[8:9]
	s_cbranch_vccnz .LBB20_40
; %bb.39:
	v_mad_u64_u32 v[16:17], s[8:9], s4, v10, 0
	v_mov_b32_e32 v18, v17
	v_mad_u64_u32 v[10:11], s[8:9], s5, v10, v[18:19]
	v_mov_b32_e32 v17, v10
	v_lshl_add_u64 v[10:11], v[16:17], 3, v[14:15]
	global_store_dwordx2 v[10:11], v[12:13], off
.LBB20_40:
	s_or_b64 exec, exec, s[6:7]
	v_cmp_gt_i64_e32 vcc, s[14:15], v[8:9]
	s_and_b64 exec, exec, vcc
	s_cbranch_execz .LBB20_51
; %bb.41:
	v_cndmask_b32_e64 v10, 0, 1, s[2:3]
	v_cmp_ne_u32_e64 s[2:3], 1, v10
	s_and_saveexec_b64 s[6:7], s[0:1]
	s_xor_b64 s[0:1], exec, s[6:7]
	s_cbranch_execz .LBB20_46
; %bb.42:
	s_and_b64 vcc, exec, s[2:3]
	s_mov_b64 s[6:7], -1
	s_cbranch_vccnz .LBB20_44
; %bb.43:
	v_lshl_add_u64 v[0:1], v[8:9], 3, v[0:1]
	global_load_dwordx2 v[10:11], v[0:1], off
	v_mul_f64 v[12:13], v[4:5], v[2:3]
	s_mov_b64 s[6:7], 0
	s_waitcnt vmcnt(0)
	v_fmac_f64_e32 v[12:13], v[6:7], v[10:11]
	global_store_dwordx2 v[0:1], v[12:13], off
.LBB20_44:
	s_andn2_b64 vcc, exec, s[6:7]
                                        ; implicit-def: $vgpr0_vgpr1
	s_cbranch_vccnz .LBB20_46
; %bb.45:
	v_mad_u64_u32 v[0:1], s[6:7], s4, v8, 0
	v_mov_b32_e32 v10, v1
	v_mad_u64_u32 v[8:9], s[6:7], s5, v8, v[10:11]
	v_mov_b32_e32 v1, v8
	v_lshl_add_u64 v[0:1], v[0:1], 3, v[14:15]
	global_load_dwordx2 v[8:9], v[0:1], off
	v_mul_f64 v[2:3], v[4:5], v[2:3]
                                        ; implicit-def: $vgpr14_vgpr15
                                        ; implicit-def: $vgpr4_vgpr5
	s_waitcnt vmcnt(0)
	v_fmac_f64_e32 v[2:3], v[6:7], v[8:9]
	global_store_dwordx2 v[0:1], v[2:3], off
                                        ; implicit-def: $vgpr0_vgpr1_vgpr2_vgpr3
                                        ; implicit-def: $vgpr8_vgpr9
                                        ; implicit-def: $vgpr0_vgpr1
.LBB20_46:
	s_andn2_saveexec_b64 s[0:1], s[0:1]
	s_cbranch_execz .LBB20_51
; %bb.47:
	v_mul_f64 v[2:3], v[4:5], v[2:3]
	s_and_b64 vcc, exec, s[2:3]
	s_mov_b64 s[0:1], -1
	s_cbranch_vccnz .LBB20_49
; %bb.48:
	v_lshl_add_u64 v[0:1], v[8:9], 3, v[0:1]
	s_mov_b64 s[0:1], 0
	global_store_dwordx2 v[0:1], v[2:3], off
.LBB20_49:
	s_andn2_b64 vcc, exec, s[0:1]
	s_cbranch_vccnz .LBB20_51
; %bb.50:
	v_mad_u64_u32 v[0:1], s[0:1], s4, v8, 0
	v_mov_b32_e32 v4, v1
	v_mad_u64_u32 v[4:5], s[0:1], s5, v8, v[4:5]
	v_mov_b32_e32 v1, v4
	v_lshl_add_u64 v[0:1], v[0:1], 3, v[14:15]
	global_store_dwordx2 v[0:1], v[2:3], off
.LBB20_51:
	s_endpgm
	.section	.rodata,"a",@progbits
	.p2align	6, 0x0
	.amdhsa_kernel _ZN9rocsparseL31bsrmm_large_blockdim_kernel_extILj8ELj8ELj2EllddddEEvb20rocsparse_direction_T3_S2_llNS_24const_host_device_scalarIT7_EEPKT2_PKS2_PKT4_S2_PKT5_llS5_PT6_ll16rocsparse_order_21rocsparse_index_base_b
		.amdhsa_group_segment_fixed_size 1536
		.amdhsa_private_segment_fixed_size 0
		.amdhsa_kernarg_size 148
		.amdhsa_user_sgpr_count 2
		.amdhsa_user_sgpr_dispatch_ptr 0
		.amdhsa_user_sgpr_queue_ptr 0
		.amdhsa_user_sgpr_kernarg_segment_ptr 1
		.amdhsa_user_sgpr_dispatch_id 0
		.amdhsa_user_sgpr_kernarg_preload_length 0
		.amdhsa_user_sgpr_kernarg_preload_offset 0
		.amdhsa_user_sgpr_private_segment_size 0
		.amdhsa_uses_dynamic_stack 0
		.amdhsa_enable_private_segment 0
		.amdhsa_system_sgpr_workgroup_id_x 1
		.amdhsa_system_sgpr_workgroup_id_y 1
		.amdhsa_system_sgpr_workgroup_id_z 0
		.amdhsa_system_sgpr_workgroup_info 0
		.amdhsa_system_vgpr_workitem_id 1
		.amdhsa_next_free_vgpr 36
		.amdhsa_next_free_sgpr 47
		.amdhsa_accum_offset 36
		.amdhsa_reserve_vcc 1
		.amdhsa_float_round_mode_32 0
		.amdhsa_float_round_mode_16_64 0
		.amdhsa_float_denorm_mode_32 3
		.amdhsa_float_denorm_mode_16_64 3
		.amdhsa_dx10_clamp 1
		.amdhsa_ieee_mode 1
		.amdhsa_fp16_overflow 0
		.amdhsa_tg_split 0
		.amdhsa_exception_fp_ieee_invalid_op 0
		.amdhsa_exception_fp_denorm_src 0
		.amdhsa_exception_fp_ieee_div_zero 0
		.amdhsa_exception_fp_ieee_overflow 0
		.amdhsa_exception_fp_ieee_underflow 0
		.amdhsa_exception_fp_ieee_inexact 0
		.amdhsa_exception_int_div_zero 0
	.end_amdhsa_kernel
	.section	.text._ZN9rocsparseL31bsrmm_large_blockdim_kernel_extILj8ELj8ELj2EllddddEEvb20rocsparse_direction_T3_S2_llNS_24const_host_device_scalarIT7_EEPKT2_PKS2_PKT4_S2_PKT5_llS5_PT6_ll16rocsparse_order_21rocsparse_index_base_b,"axG",@progbits,_ZN9rocsparseL31bsrmm_large_blockdim_kernel_extILj8ELj8ELj2EllddddEEvb20rocsparse_direction_T3_S2_llNS_24const_host_device_scalarIT7_EEPKT2_PKS2_PKT4_S2_PKT5_llS5_PT6_ll16rocsparse_order_21rocsparse_index_base_b,comdat
.Lfunc_end20:
	.size	_ZN9rocsparseL31bsrmm_large_blockdim_kernel_extILj8ELj8ELj2EllddddEEvb20rocsparse_direction_T3_S2_llNS_24const_host_device_scalarIT7_EEPKT2_PKS2_PKT4_S2_PKT5_llS5_PT6_ll16rocsparse_order_21rocsparse_index_base_b, .Lfunc_end20-_ZN9rocsparseL31bsrmm_large_blockdim_kernel_extILj8ELj8ELj2EllddddEEvb20rocsparse_direction_T3_S2_llNS_24const_host_device_scalarIT7_EEPKT2_PKS2_PKT4_S2_PKT5_llS5_PT6_ll16rocsparse_order_21rocsparse_index_base_b
                                        ; -- End function
	.set _ZN9rocsparseL31bsrmm_large_blockdim_kernel_extILj8ELj8ELj2EllddddEEvb20rocsparse_direction_T3_S2_llNS_24const_host_device_scalarIT7_EEPKT2_PKS2_PKT4_S2_PKT5_llS5_PT6_ll16rocsparse_order_21rocsparse_index_base_b.num_vgpr, 36
	.set _ZN9rocsparseL31bsrmm_large_blockdim_kernel_extILj8ELj8ELj2EllddddEEvb20rocsparse_direction_T3_S2_llNS_24const_host_device_scalarIT7_EEPKT2_PKS2_PKT4_S2_PKT5_llS5_PT6_ll16rocsparse_order_21rocsparse_index_base_b.num_agpr, 0
	.set _ZN9rocsparseL31bsrmm_large_blockdim_kernel_extILj8ELj8ELj2EllddddEEvb20rocsparse_direction_T3_S2_llNS_24const_host_device_scalarIT7_EEPKT2_PKS2_PKT4_S2_PKT5_llS5_PT6_ll16rocsparse_order_21rocsparse_index_base_b.numbered_sgpr, 47
	.set _ZN9rocsparseL31bsrmm_large_blockdim_kernel_extILj8ELj8ELj2EllddddEEvb20rocsparse_direction_T3_S2_llNS_24const_host_device_scalarIT7_EEPKT2_PKS2_PKT4_S2_PKT5_llS5_PT6_ll16rocsparse_order_21rocsparse_index_base_b.num_named_barrier, 0
	.set _ZN9rocsparseL31bsrmm_large_blockdim_kernel_extILj8ELj8ELj2EllddddEEvb20rocsparse_direction_T3_S2_llNS_24const_host_device_scalarIT7_EEPKT2_PKS2_PKT4_S2_PKT5_llS5_PT6_ll16rocsparse_order_21rocsparse_index_base_b.private_seg_size, 0
	.set _ZN9rocsparseL31bsrmm_large_blockdim_kernel_extILj8ELj8ELj2EllddddEEvb20rocsparse_direction_T3_S2_llNS_24const_host_device_scalarIT7_EEPKT2_PKS2_PKT4_S2_PKT5_llS5_PT6_ll16rocsparse_order_21rocsparse_index_base_b.uses_vcc, 1
	.set _ZN9rocsparseL31bsrmm_large_blockdim_kernel_extILj8ELj8ELj2EllddddEEvb20rocsparse_direction_T3_S2_llNS_24const_host_device_scalarIT7_EEPKT2_PKS2_PKT4_S2_PKT5_llS5_PT6_ll16rocsparse_order_21rocsparse_index_base_b.uses_flat_scratch, 0
	.set _ZN9rocsparseL31bsrmm_large_blockdim_kernel_extILj8ELj8ELj2EllddddEEvb20rocsparse_direction_T3_S2_llNS_24const_host_device_scalarIT7_EEPKT2_PKS2_PKT4_S2_PKT5_llS5_PT6_ll16rocsparse_order_21rocsparse_index_base_b.has_dyn_sized_stack, 0
	.set _ZN9rocsparseL31bsrmm_large_blockdim_kernel_extILj8ELj8ELj2EllddddEEvb20rocsparse_direction_T3_S2_llNS_24const_host_device_scalarIT7_EEPKT2_PKS2_PKT4_S2_PKT5_llS5_PT6_ll16rocsparse_order_21rocsparse_index_base_b.has_recursion, 0
	.set _ZN9rocsparseL31bsrmm_large_blockdim_kernel_extILj8ELj8ELj2EllddddEEvb20rocsparse_direction_T3_S2_llNS_24const_host_device_scalarIT7_EEPKT2_PKS2_PKT4_S2_PKT5_llS5_PT6_ll16rocsparse_order_21rocsparse_index_base_b.has_indirect_call, 0
	.section	.AMDGPU.csdata,"",@progbits
; Kernel info:
; codeLenInByte = 1804
; TotalNumSgprs: 53
; NumVgprs: 36
; NumAgprs: 0
; TotalNumVgprs: 36
; ScratchSize: 0
; MemoryBound: 0
; FloatMode: 240
; IeeeMode: 1
; LDSByteSize: 1536 bytes/workgroup (compile time only)
; SGPRBlocks: 6
; VGPRBlocks: 4
; NumSGPRsForWavesPerEU: 53
; NumVGPRsForWavesPerEU: 36
; AccumOffset: 36
; Occupancy: 8
; WaveLimiterHint : 1
; COMPUTE_PGM_RSRC2:SCRATCH_EN: 0
; COMPUTE_PGM_RSRC2:USER_SGPR: 2
; COMPUTE_PGM_RSRC2:TRAP_HANDLER: 0
; COMPUTE_PGM_RSRC2:TGID_X_EN: 1
; COMPUTE_PGM_RSRC2:TGID_Y_EN: 1
; COMPUTE_PGM_RSRC2:TGID_Z_EN: 0
; COMPUTE_PGM_RSRC2:TIDIG_COMP_CNT: 1
; COMPUTE_PGM_RSRC3_GFX90A:ACCUM_OFFSET: 8
; COMPUTE_PGM_RSRC3_GFX90A:TG_SPLIT: 0
	.section	.text._ZN9rocsparseL31bsrmm_large_blockdim_kernel_extILj4ELj16ELj2EllddddEEvb20rocsparse_direction_T3_S2_llNS_24const_host_device_scalarIT7_EEPKT2_PKS2_PKT4_S2_PKT5_llS5_PT6_ll16rocsparse_order_21rocsparse_index_base_b,"axG",@progbits,_ZN9rocsparseL31bsrmm_large_blockdim_kernel_extILj4ELj16ELj2EllddddEEvb20rocsparse_direction_T3_S2_llNS_24const_host_device_scalarIT7_EEPKT2_PKS2_PKT4_S2_PKT5_llS5_PT6_ll16rocsparse_order_21rocsparse_index_base_b,comdat
	.globl	_ZN9rocsparseL31bsrmm_large_blockdim_kernel_extILj4ELj16ELj2EllddddEEvb20rocsparse_direction_T3_S2_llNS_24const_host_device_scalarIT7_EEPKT2_PKS2_PKT4_S2_PKT5_llS5_PT6_ll16rocsparse_order_21rocsparse_index_base_b ; -- Begin function _ZN9rocsparseL31bsrmm_large_blockdim_kernel_extILj4ELj16ELj2EllddddEEvb20rocsparse_direction_T3_S2_llNS_24const_host_device_scalarIT7_EEPKT2_PKS2_PKT4_S2_PKT5_llS5_PT6_ll16rocsparse_order_21rocsparse_index_base_b
	.p2align	8
	.type	_ZN9rocsparseL31bsrmm_large_blockdim_kernel_extILj4ELj16ELj2EllddddEEvb20rocsparse_direction_T3_S2_llNS_24const_host_device_scalarIT7_EEPKT2_PKS2_PKT4_S2_PKT5_llS5_PT6_ll16rocsparse_order_21rocsparse_index_base_b,@function
_ZN9rocsparseL31bsrmm_large_blockdim_kernel_extILj4ELj16ELj2EllddddEEvb20rocsparse_direction_T3_S2_llNS_24const_host_device_scalarIT7_EEPKT2_PKS2_PKT4_S2_PKT5_llS5_PT6_ll16rocsparse_order_21rocsparse_index_base_b: ; @_ZN9rocsparseL31bsrmm_large_blockdim_kernel_extILj4ELj16ELj2EllddddEEvb20rocsparse_direction_T3_S2_llNS_24const_host_device_scalarIT7_EEPKT2_PKS2_PKT4_S2_PKT5_llS5_PT6_ll16rocsparse_order_21rocsparse_index_base_b
; %bb.0:
	s_load_dwordx4 s[16:19], s[0:1], 0x88
	s_load_dwordx2 s[10:11], s[0:1], 0x28
	s_load_dwordx2 s[4:5], s[0:1], 0x68
	s_mov_b32 s6, s3
	s_waitcnt lgkmcnt(0)
	s_bitcmp1_b32 s18, 0
	s_cselect_b64 s[12:13], -1, 0
	s_xor_b64 s[8:9], s[12:13], -1
	s_and_b64 vcc, exec, s[12:13]
	v_mov_b64_e32 v[4:5], s[10:11]
	s_cbranch_vccnz .LBB21_2
; %bb.1:
	v_mov_b64_e32 v[2:3], s[10:11]
	flat_load_dwordx2 v[4:5], v[2:3]
.LBB21_2:
	s_andn2_b64 vcc, exec, s[8:9]
	v_mov_b64_e32 v[6:7], s[4:5]
	s_cbranch_vccnz .LBB21_4
; %bb.3:
	v_mov_b64_e32 v[2:3], s[4:5]
	flat_load_dwordx2 v[6:7], v[2:3]
.LBB21_4:
	s_waitcnt vmcnt(0) lgkmcnt(0)
	v_cmp_neq_f64_e32 vcc, 0, v[4:5]
	v_cmp_neq_f64_e64 s[4:5], 1.0, v[6:7]
	s_mov_b64 s[18:19], 0
	s_or_b64 s[4:5], vcc, s[4:5]
	s_and_saveexec_b64 s[8:9], s[4:5]
	s_cbranch_execz .LBB21_51
; %bb.5:
	s_load_dwordx4 s[12:15], s[0:1], 0x8
	s_load_dwordx2 s[8:9], s[0:1], 0x30
	s_ashr_i32 s3, s2, 31
	v_mov_b64_e32 v[2:3], s[2:3]
	s_waitcnt lgkmcnt(0)
	v_cmp_le_i64_e32 vcc, s[12:13], v[2:3]
	v_cmp_gt_i64_e64 s[4:5], s[12:13], v[2:3]
	s_cbranch_vccnz .LBB21_7
; %bb.6:
	s_lshl_b64 s[10:11], s[2:3], 3
	s_add_u32 s10, s8, s10
	s_addc_u32 s11, s9, s11
	s_load_dwordx2 s[10:11], s[10:11], 0x0
	s_waitcnt lgkmcnt(0)
	s_sub_u32 s18, s10, s17
	s_subb_u32 s19, s11, 0
.LBB21_7:
	s_andn2_b64 vcc, exec, s[4:5]
	s_mov_b64 s[34:35], 0
	s_cbranch_vccnz .LBB21_9
; %bb.8:
	s_lshl_b64 s[10:11], s[2:3], 3
	s_add_u32 s8, s8, s10
	s_addc_u32 s9, s9, s11
	s_load_dwordx2 s[8:9], s[8:9], 0x8
	s_waitcnt lgkmcnt(0)
	s_sub_u32 s34, s8, s17
	s_subb_u32 s35, s9, 0
.LBB21_9:
	s_load_dwordx2 s[28:29], s[0:1], 0x70
	s_load_dwordx2 s[30:31], s[0:1], 0x48
	v_bfe_u32 v2, v0, 10, 10
	v_lshl_add_u32 v10, s6, 5, v2
	v_mov_b32_e32 v11, 0
	v_mov_b64_e32 v[12:13], s[34:35]
	v_add_u32_e32 v8, 16, v10
	v_mov_b32_e32 v9, v11
	v_and_b32_e32 v0, 0x3ff, v0
	v_mov_b32_e32 v1, v11
	v_cmp_ge_i64_e32 vcc, s[18:19], v[12:13]
	s_waitcnt lgkmcnt(0)
	v_cmp_gt_i64_e64 s[6:7], s[30:31], v[0:1]
	v_cmp_gt_i64_e64 s[8:9], s[14:15], v[10:11]
	;; [unrolled: 1-line block ×3, first 2 shown]
	s_cbranch_vccnz .LBB21_27
; %bb.10:
	s_load_dwordx4 s[24:27], s[0:1], 0x38
	s_load_dwordx2 s[38:39], s[0:1], 0x0
	s_mul_i32 s3, s30, s31
	s_mul_hi_u32 s12, s30, s30
	v_mov_b32_e32 v3, v11
	s_add_i32 s12, s12, s3
	v_cmp_gt_i64_e32 vcc, s[30:31], v[2:3]
	s_add_i32 s3, s12, s3
	s_and_b64 s[36:37], s[6:7], vcc
	s_waitcnt lgkmcnt(0)
	s_bitcmp1_b32 s38, 0
	s_cselect_b64 s[12:13], -1, 0
	s_cmp_eq_u32 s39, 0
	v_mad_u64_u32 v[16:17], s[38:39], s30, v2, 0
	v_mov_b32_e32 v18, v17
	v_lshlrev_b32_e32 v12, 3, v2
	v_lshlrev_b32_e32 v26, 5, v2
	v_mad_u64_u32 v[2:3], s[38:39], s31, v2, v[18:19]
	v_mov_b32_e32 v17, v2
	s_load_dwordx4 s[20:23], s[0:1], 0x50
	v_lshl_add_u64 v[2:3], v[16:17], 3, s[26:27]
	v_mad_u64_u32 v[16:17], s[38:39], s30, v0, 0
	v_mov_b32_e32 v18, v17
	v_mad_u64_u32 v[18:19], s[38:39], s31, v0, v[18:19]
	v_mov_b32_e32 v17, v18
	v_lshl_add_u64 v[16:17], v[16:17], 3, s[26:27]
	v_mov_b32_e32 v13, v11
	v_add_u32_e32 v24, 0x400, v12
	v_lshl_add_u64 v[12:13], v[16:17], 0, v[12:13]
	s_waitcnt lgkmcnt(0)
	v_mad_u64_u32 v[16:17], s[26:27], s22, v10, 0
	v_mov_b32_e32 v18, v17
	v_mad_u64_u32 v[18:19], s[26:27], s23, v10, v[18:19]
	v_mov_b32_e32 v17, v18
	v_mad_u64_u32 v[18:19], s[26:27], s22, v8, 0
	v_lshlrev_b32_e32 v22, 3, v0
	v_mov_b32_e32 v23, v11
	v_mov_b32_e32 v20, v19
	v_lshl_add_u64 v[14:15], s[20:21], 0, v[22:23]
	v_lshl_add_u64 v[2:3], v[2:3], 0, v[22:23]
	s_cselect_b64 vcc, -1, 0
	v_lshlrev_b32_e32 v23, 5, v0
	v_cmp_gt_i64_e64 s[38:39], s[30:31], 0
	v_mad_u64_u32 v[20:21], s[26:27], s23, v8, v[20:21]
	s_mul_i32 s33, s30, s30
	v_mov_b32_e32 v19, v20
	s_and_b64 s[26:27], s[8:9], s[38:39]
	s_and_b64 s[38:39], s[10:11], s[38:39]
	v_cndmask_b32_e32 v21, v3, v13, vcc
	v_cndmask_b32_e32 v20, v2, v12, vcc
	v_add_u32_e32 v27, 0x400, v23
	v_add_u32_e32 v28, 0x200, v26
	v_mov_b32_e32 v12, v11
	v_mov_b32_e32 v13, v11
	;; [unrolled: 1-line block ×4, first 2 shown]
	v_add_u32_e32 v29, v24, v23
	v_add_u32_e32 v30, v22, v26
	s_branch .LBB21_13
.LBB21_11:                              ;   in Loop: Header=BB21_13 Depth=1
	s_or_b64 exec, exec, s[42:43]
.LBB21_12:                              ;   in Loop: Header=BB21_13 Depth=1
	s_or_b64 exec, exec, s[40:41]
	s_add_u32 s18, s18, 1
	s_addc_u32 s19, s19, 0
	v_mov_b64_e32 v[22:23], s[34:35]
	v_cmp_ge_i64_e32 vcc, s[18:19], v[22:23]
	; wave barrier
	s_cbranch_vccnz .LBB21_28
.LBB21_13:                              ; =>This Loop Header: Depth=1
                                        ;     Child Loop BB21_23 Depth 2
                                        ;     Child Loop BB21_26 Depth 2
	s_and_saveexec_b64 s[40:41], s[6:7]
	s_cbranch_execz .LBB21_18
; %bb.14:                               ;   in Loop: Header=BB21_13 Depth=1
	s_lshl_b64 s[42:43], s[18:19], 3
	s_add_u32 s42, s24, s42
	s_addc_u32 s43, s25, s43
	s_load_dwordx2 s[42:43], s[42:43], 0x0
	v_mov_b32_e32 v22, s30
	s_waitcnt lgkmcnt(0)
	s_sub_u32 s44, s42, s17
	s_subb_u32 s43, s43, 0
	s_mul_i32 s46, s44, s31
	s_mul_i32 s43, s43, s30
	s_mul_hi_u32 s45, s44, s30
	s_add_i32 s46, s46, s43
	s_mul_i32 s42, s44, s30
	s_add_i32 s43, s46, s45
	v_mad_u64_u32 v[22:23], s[44:45], s44, v22, v[0:1]
	v_add_u32_e32 v23, s46, v23
	v_mul_lo_u32 v24, v23, s22
	v_mul_lo_u32 v25, v22, s23
	v_mad_u64_u32 v[22:23], s[44:45], v22, s22, 0
	v_add3_u32 v23, v23, v25, v24
	v_lshl_add_u64 v[22:23], v[22:23], 3, s[20:21]
	v_lshl_add_u64 v[24:25], s[42:43], 3, v[14:15]
	s_and_saveexec_b64 s[42:43], s[8:9]
	s_cbranch_execz .LBB21_16
; %bb.15:                               ;   in Loop: Header=BB21_13 Depth=1
	v_lshl_add_u64 v[32:33], v[10:11], 3, v[22:23]
	v_lshl_add_u64 v[34:35], v[16:17], 3, v[24:25]
	v_cndmask_b32_e64 v33, v33, v35, s[12:13]
	v_cndmask_b32_e64 v32, v32, v34, s[12:13]
	global_load_dwordx2 v[32:33], v[32:33], off
	s_waitcnt vmcnt(0)
	ds_write_b64 v30, v[32:33]
.LBB21_16:                              ;   in Loop: Header=BB21_13 Depth=1
	s_or_b64 exec, exec, s[42:43]
	s_and_b64 exec, exec, s[10:11]
	s_cbranch_execz .LBB21_18
; %bb.17:                               ;   in Loop: Header=BB21_13 Depth=1
	v_lshl_add_u64 v[24:25], v[18:19], 3, v[24:25]
	v_lshl_add_u64 v[22:23], v[8:9], 3, v[22:23]
	v_cndmask_b32_e64 v23, v23, v25, s[12:13]
	v_cndmask_b32_e64 v22, v22, v24, s[12:13]
	global_load_dwordx2 v[22:23], v[22:23], off
	s_waitcnt vmcnt(0)
	ds_write_b64 v30, v[22:23] offset:512
.LBB21_18:                              ;   in Loop: Header=BB21_13 Depth=1
	s_or_b64 exec, exec, s[40:41]
	s_and_saveexec_b64 s[40:41], s[36:37]
	s_cbranch_execz .LBB21_20
; %bb.19:                               ;   in Loop: Header=BB21_13 Depth=1
	s_mul_i32 s42, s33, s19
	s_mul_hi_u32 s43, s33, s18
	s_add_i32 s42, s43, s42
	s_mul_i32 s43, s3, s18
	s_add_i32 s43, s42, s43
	s_mul_i32 s42, s33, s18
	v_lshl_add_u64 v[22:23], s[42:43], 3, v[20:21]
	global_load_dwordx2 v[22:23], v[22:23], off
	s_waitcnt vmcnt(0)
	ds_write_b64 v29, v[22:23]
.LBB21_20:                              ;   in Loop: Header=BB21_13 Depth=1
	s_or_b64 exec, exec, s[40:41]
	s_waitcnt lgkmcnt(0)
	; wave barrier
	s_and_saveexec_b64 s[40:41], s[6:7]
	s_cbranch_execz .LBB21_12
; %bb.21:                               ;   in Loop: Header=BB21_13 Depth=1
	s_and_saveexec_b64 s[42:43], s[26:27]
	s_cbranch_execz .LBB21_24
; %bb.22:                               ;   in Loop: Header=BB21_13 Depth=1
	v_mov_b32_e32 v22, v27
	v_mov_b32_e32 v23, v26
	s_mov_b64 s[44:45], s[30:31]
.LBB21_23:                              ;   Parent Loop BB21_13 Depth=1
                                        ; =>  This Inner Loop Header: Depth=2
	ds_read_b64 v[24:25], v22
	ds_read_b64 v[32:33], v23
	s_add_u32 s44, s44, -1
	s_addc_u32 s45, s45, -1
	v_add_u32_e32 v23, 8, v23
	v_add_u32_e32 v22, 8, v22
	s_cmp_lg_u64 s[44:45], 0
	s_waitcnt lgkmcnt(0)
	v_fmac_f64_e32 v[12:13], v[24:25], v[32:33]
	s_cbranch_scc1 .LBB21_23
.LBB21_24:                              ;   in Loop: Header=BB21_13 Depth=1
	s_or_b64 exec, exec, s[42:43]
	s_and_saveexec_b64 s[42:43], s[38:39]
	s_cbranch_execz .LBB21_11
; %bb.25:                               ;   in Loop: Header=BB21_13 Depth=1
	v_mov_b32_e32 v22, v27
	v_mov_b32_e32 v23, v28
	s_mov_b64 s[44:45], s[30:31]
.LBB21_26:                              ;   Parent Loop BB21_13 Depth=1
                                        ; =>  This Inner Loop Header: Depth=2
	ds_read_b64 v[24:25], v22
	ds_read_b64 v[32:33], v23
	s_add_u32 s44, s44, -1
	s_addc_u32 s45, s45, -1
	v_add_u32_e32 v23, 8, v23
	v_add_u32_e32 v22, 8, v22
	s_cmp_lg_u64 s[44:45], 0
	s_waitcnt lgkmcnt(0)
	v_fmac_f64_e32 v[2:3], v[24:25], v[32:33]
	s_cbranch_scc1 .LBB21_26
	s_branch .LBB21_11
.LBB21_27:
	v_mov_b32_e32 v12, v11
	v_mov_b32_e32 v13, v11
	;; [unrolled: 1-line block ×4, first 2 shown]
.LBB21_28:
	s_and_b64 s[4:5], s[4:5], s[6:7]
	s_and_b64 exec, exec, s[4:5]
	s_cbranch_execz .LBB21_51
; %bb.29:
	v_mov_b32_e32 v14, s2
	v_mad_u64_u32 v[14:15], s[4:5], s30, v14, v[0:1]
	s_load_dwordx2 s[4:5], s[0:1], 0x78
	s_mul_i32 s2, s31, s2
	v_add_u32_e32 v15, s2, v15
	s_cmp_lg_u32 s16, 1
	v_cmp_neq_f64_e64 s[0:1], 0, v[6:7]
	s_waitcnt lgkmcnt(0)
	v_mul_lo_u32 v16, s5, v14
	v_mul_lo_u32 v17, s4, v15
	v_mad_u64_u32 v[0:1], s[6:7], s4, v14, 0
	v_add3_u32 v1, v1, v17, v16
	s_cselect_b64 s[2:3], -1, 0
	v_lshl_add_u64 v[0:1], v[0:1], 3, s[28:29]
	v_lshl_add_u64 v[14:15], v[14:15], 3, s[28:29]
	v_cmp_gt_i64_e32 vcc, s[14:15], v[10:11]
	s_and_saveexec_b64 s[6:7], vcc
	s_cbranch_execz .LBB21_40
; %bb.30:
	s_and_saveexec_b64 s[8:9], s[0:1]
	s_xor_b64 s[8:9], exec, s[8:9]
	s_cbranch_execz .LBB21_35
; %bb.31:
	s_mov_b64 s[10:11], -1
	s_and_b64 vcc, exec, s[2:3]
	s_cbranch_vccz .LBB21_33
; %bb.32:
	v_lshl_add_u64 v[16:17], v[10:11], 3, v[0:1]
	global_load_dwordx2 v[18:19], v[16:17], off
	v_mul_f64 v[20:21], v[4:5], v[12:13]
	s_mov_b64 s[10:11], 0
	s_waitcnt vmcnt(0)
	v_fmac_f64_e32 v[20:21], v[6:7], v[18:19]
	global_store_dwordx2 v[16:17], v[20:21], off
.LBB21_33:
	s_andn2_b64 vcc, exec, s[10:11]
	s_cbranch_vccnz .LBB21_35
; %bb.34:
	v_mad_u64_u32 v[16:17], s[10:11], s4, v10, 0
	v_mov_b32_e32 v18, v17
	v_mad_u64_u32 v[10:11], s[10:11], s5, v10, v[18:19]
	v_mov_b32_e32 v17, v10
	v_lshl_add_u64 v[10:11], v[16:17], 3, v[14:15]
	global_load_dwordx2 v[16:17], v[10:11], off
	v_mul_f64 v[18:19], v[4:5], v[12:13]
	s_waitcnt vmcnt(0)
	v_fmac_f64_e32 v[18:19], v[6:7], v[16:17]
	global_store_dwordx2 v[10:11], v[18:19], off
                                        ; implicit-def: $vgpr10_vgpr11
.LBB21_35:
	s_andn2_saveexec_b64 s[8:9], s[8:9]
	s_cbranch_execz .LBB21_40
; %bb.36:
	v_mul_f64 v[12:13], v[4:5], v[12:13]
	s_mov_b64 s[8:9], -1
	s_and_b64 vcc, exec, s[2:3]
	s_cbranch_vccz .LBB21_38
; %bb.37:
	v_lshl_add_u64 v[16:17], v[10:11], 3, v[0:1]
	global_store_dwordx2 v[16:17], v[12:13], off
	s_mov_b64 s[8:9], 0
.LBB21_38:
	s_andn2_b64 vcc, exec, s[8:9]
	s_cbranch_vccnz .LBB21_40
; %bb.39:
	v_mad_u64_u32 v[16:17], s[8:9], s4, v10, 0
	v_mov_b32_e32 v18, v17
	v_mad_u64_u32 v[10:11], s[8:9], s5, v10, v[18:19]
	v_mov_b32_e32 v17, v10
	v_lshl_add_u64 v[10:11], v[16:17], 3, v[14:15]
	global_store_dwordx2 v[10:11], v[12:13], off
.LBB21_40:
	s_or_b64 exec, exec, s[6:7]
	v_cmp_gt_i64_e32 vcc, s[14:15], v[8:9]
	s_and_b64 exec, exec, vcc
	s_cbranch_execz .LBB21_51
; %bb.41:
	v_cndmask_b32_e64 v10, 0, 1, s[2:3]
	v_cmp_ne_u32_e64 s[2:3], 1, v10
	s_and_saveexec_b64 s[6:7], s[0:1]
	s_xor_b64 s[0:1], exec, s[6:7]
	s_cbranch_execz .LBB21_46
; %bb.42:
	s_and_b64 vcc, exec, s[2:3]
	s_mov_b64 s[6:7], -1
	s_cbranch_vccnz .LBB21_44
; %bb.43:
	v_lshl_add_u64 v[0:1], v[8:9], 3, v[0:1]
	global_load_dwordx2 v[10:11], v[0:1], off
	v_mul_f64 v[12:13], v[4:5], v[2:3]
	s_mov_b64 s[6:7], 0
	s_waitcnt vmcnt(0)
	v_fmac_f64_e32 v[12:13], v[6:7], v[10:11]
	global_store_dwordx2 v[0:1], v[12:13], off
.LBB21_44:
	s_andn2_b64 vcc, exec, s[6:7]
                                        ; implicit-def: $vgpr0_vgpr1
	s_cbranch_vccnz .LBB21_46
; %bb.45:
	v_mad_u64_u32 v[0:1], s[6:7], s4, v8, 0
	v_mov_b32_e32 v10, v1
	v_mad_u64_u32 v[8:9], s[6:7], s5, v8, v[10:11]
	v_mov_b32_e32 v1, v8
	v_lshl_add_u64 v[0:1], v[0:1], 3, v[14:15]
	global_load_dwordx2 v[8:9], v[0:1], off
	v_mul_f64 v[2:3], v[4:5], v[2:3]
                                        ; implicit-def: $vgpr14_vgpr15
                                        ; implicit-def: $vgpr4_vgpr5
	s_waitcnt vmcnt(0)
	v_fmac_f64_e32 v[2:3], v[6:7], v[8:9]
	global_store_dwordx2 v[0:1], v[2:3], off
                                        ; implicit-def: $vgpr0_vgpr1_vgpr2_vgpr3
                                        ; implicit-def: $vgpr8_vgpr9
                                        ; implicit-def: $vgpr0_vgpr1
.LBB21_46:
	s_andn2_saveexec_b64 s[0:1], s[0:1]
	s_cbranch_execz .LBB21_51
; %bb.47:
	v_mul_f64 v[2:3], v[4:5], v[2:3]
	s_and_b64 vcc, exec, s[2:3]
	s_mov_b64 s[0:1], -1
	s_cbranch_vccnz .LBB21_49
; %bb.48:
	v_lshl_add_u64 v[0:1], v[8:9], 3, v[0:1]
	s_mov_b64 s[0:1], 0
	global_store_dwordx2 v[0:1], v[2:3], off
.LBB21_49:
	s_andn2_b64 vcc, exec, s[0:1]
	s_cbranch_vccnz .LBB21_51
; %bb.50:
	v_mad_u64_u32 v[0:1], s[0:1], s4, v8, 0
	v_mov_b32_e32 v4, v1
	v_mad_u64_u32 v[4:5], s[0:1], s5, v8, v[4:5]
	v_mov_b32_e32 v1, v4
	v_lshl_add_u64 v[0:1], v[0:1], 3, v[14:15]
	global_store_dwordx2 v[0:1], v[2:3], off
.LBB21_51:
	s_endpgm
	.section	.rodata,"a",@progbits
	.p2align	6, 0x0
	.amdhsa_kernel _ZN9rocsparseL31bsrmm_large_blockdim_kernel_extILj4ELj16ELj2EllddddEEvb20rocsparse_direction_T3_S2_llNS_24const_host_device_scalarIT7_EEPKT2_PKS2_PKT4_S2_PKT5_llS5_PT6_ll16rocsparse_order_21rocsparse_index_base_b
		.amdhsa_group_segment_fixed_size 1152
		.amdhsa_private_segment_fixed_size 0
		.amdhsa_kernarg_size 148
		.amdhsa_user_sgpr_count 2
		.amdhsa_user_sgpr_dispatch_ptr 0
		.amdhsa_user_sgpr_queue_ptr 0
		.amdhsa_user_sgpr_kernarg_segment_ptr 1
		.amdhsa_user_sgpr_dispatch_id 0
		.amdhsa_user_sgpr_kernarg_preload_length 0
		.amdhsa_user_sgpr_kernarg_preload_offset 0
		.amdhsa_user_sgpr_private_segment_size 0
		.amdhsa_uses_dynamic_stack 0
		.amdhsa_enable_private_segment 0
		.amdhsa_system_sgpr_workgroup_id_x 1
		.amdhsa_system_sgpr_workgroup_id_y 1
		.amdhsa_system_sgpr_workgroup_id_z 0
		.amdhsa_system_sgpr_workgroup_info 0
		.amdhsa_system_vgpr_workitem_id 1
		.amdhsa_next_free_vgpr 36
		.amdhsa_next_free_sgpr 47
		.amdhsa_accum_offset 36
		.amdhsa_reserve_vcc 1
		.amdhsa_float_round_mode_32 0
		.amdhsa_float_round_mode_16_64 0
		.amdhsa_float_denorm_mode_32 3
		.amdhsa_float_denorm_mode_16_64 3
		.amdhsa_dx10_clamp 1
		.amdhsa_ieee_mode 1
		.amdhsa_fp16_overflow 0
		.amdhsa_tg_split 0
		.amdhsa_exception_fp_ieee_invalid_op 0
		.amdhsa_exception_fp_denorm_src 0
		.amdhsa_exception_fp_ieee_div_zero 0
		.amdhsa_exception_fp_ieee_overflow 0
		.amdhsa_exception_fp_ieee_underflow 0
		.amdhsa_exception_fp_ieee_inexact 0
		.amdhsa_exception_int_div_zero 0
	.end_amdhsa_kernel
	.section	.text._ZN9rocsparseL31bsrmm_large_blockdim_kernel_extILj4ELj16ELj2EllddddEEvb20rocsparse_direction_T3_S2_llNS_24const_host_device_scalarIT7_EEPKT2_PKS2_PKT4_S2_PKT5_llS5_PT6_ll16rocsparse_order_21rocsparse_index_base_b,"axG",@progbits,_ZN9rocsparseL31bsrmm_large_blockdim_kernel_extILj4ELj16ELj2EllddddEEvb20rocsparse_direction_T3_S2_llNS_24const_host_device_scalarIT7_EEPKT2_PKS2_PKT4_S2_PKT5_llS5_PT6_ll16rocsparse_order_21rocsparse_index_base_b,comdat
.Lfunc_end21:
	.size	_ZN9rocsparseL31bsrmm_large_blockdim_kernel_extILj4ELj16ELj2EllddddEEvb20rocsparse_direction_T3_S2_llNS_24const_host_device_scalarIT7_EEPKT2_PKS2_PKT4_S2_PKT5_llS5_PT6_ll16rocsparse_order_21rocsparse_index_base_b, .Lfunc_end21-_ZN9rocsparseL31bsrmm_large_blockdim_kernel_extILj4ELj16ELj2EllddddEEvb20rocsparse_direction_T3_S2_llNS_24const_host_device_scalarIT7_EEPKT2_PKS2_PKT4_S2_PKT5_llS5_PT6_ll16rocsparse_order_21rocsparse_index_base_b
                                        ; -- End function
	.set _ZN9rocsparseL31bsrmm_large_blockdim_kernel_extILj4ELj16ELj2EllddddEEvb20rocsparse_direction_T3_S2_llNS_24const_host_device_scalarIT7_EEPKT2_PKS2_PKT4_S2_PKT5_llS5_PT6_ll16rocsparse_order_21rocsparse_index_base_b.num_vgpr, 36
	.set _ZN9rocsparseL31bsrmm_large_blockdim_kernel_extILj4ELj16ELj2EllddddEEvb20rocsparse_direction_T3_S2_llNS_24const_host_device_scalarIT7_EEPKT2_PKS2_PKT4_S2_PKT5_llS5_PT6_ll16rocsparse_order_21rocsparse_index_base_b.num_agpr, 0
	.set _ZN9rocsparseL31bsrmm_large_blockdim_kernel_extILj4ELj16ELj2EllddddEEvb20rocsparse_direction_T3_S2_llNS_24const_host_device_scalarIT7_EEPKT2_PKS2_PKT4_S2_PKT5_llS5_PT6_ll16rocsparse_order_21rocsparse_index_base_b.numbered_sgpr, 47
	.set _ZN9rocsparseL31bsrmm_large_blockdim_kernel_extILj4ELj16ELj2EllddddEEvb20rocsparse_direction_T3_S2_llNS_24const_host_device_scalarIT7_EEPKT2_PKS2_PKT4_S2_PKT5_llS5_PT6_ll16rocsparse_order_21rocsparse_index_base_b.num_named_barrier, 0
	.set _ZN9rocsparseL31bsrmm_large_blockdim_kernel_extILj4ELj16ELj2EllddddEEvb20rocsparse_direction_T3_S2_llNS_24const_host_device_scalarIT7_EEPKT2_PKS2_PKT4_S2_PKT5_llS5_PT6_ll16rocsparse_order_21rocsparse_index_base_b.private_seg_size, 0
	.set _ZN9rocsparseL31bsrmm_large_blockdim_kernel_extILj4ELj16ELj2EllddddEEvb20rocsparse_direction_T3_S2_llNS_24const_host_device_scalarIT7_EEPKT2_PKS2_PKT4_S2_PKT5_llS5_PT6_ll16rocsparse_order_21rocsparse_index_base_b.uses_vcc, 1
	.set _ZN9rocsparseL31bsrmm_large_blockdim_kernel_extILj4ELj16ELj2EllddddEEvb20rocsparse_direction_T3_S2_llNS_24const_host_device_scalarIT7_EEPKT2_PKS2_PKT4_S2_PKT5_llS5_PT6_ll16rocsparse_order_21rocsparse_index_base_b.uses_flat_scratch, 0
	.set _ZN9rocsparseL31bsrmm_large_blockdim_kernel_extILj4ELj16ELj2EllddddEEvb20rocsparse_direction_T3_S2_llNS_24const_host_device_scalarIT7_EEPKT2_PKS2_PKT4_S2_PKT5_llS5_PT6_ll16rocsparse_order_21rocsparse_index_base_b.has_dyn_sized_stack, 0
	.set _ZN9rocsparseL31bsrmm_large_blockdim_kernel_extILj4ELj16ELj2EllddddEEvb20rocsparse_direction_T3_S2_llNS_24const_host_device_scalarIT7_EEPKT2_PKS2_PKT4_S2_PKT5_llS5_PT6_ll16rocsparse_order_21rocsparse_index_base_b.has_recursion, 0
	.set _ZN9rocsparseL31bsrmm_large_blockdim_kernel_extILj4ELj16ELj2EllddddEEvb20rocsparse_direction_T3_S2_llNS_24const_host_device_scalarIT7_EEPKT2_PKS2_PKT4_S2_PKT5_llS5_PT6_ll16rocsparse_order_21rocsparse_index_base_b.has_indirect_call, 0
	.section	.AMDGPU.csdata,"",@progbits
; Kernel info:
; codeLenInByte = 1804
; TotalNumSgprs: 53
; NumVgprs: 36
; NumAgprs: 0
; TotalNumVgprs: 36
; ScratchSize: 0
; MemoryBound: 0
; FloatMode: 240
; IeeeMode: 1
; LDSByteSize: 1152 bytes/workgroup (compile time only)
; SGPRBlocks: 6
; VGPRBlocks: 4
; NumSGPRsForWavesPerEU: 53
; NumVGPRsForWavesPerEU: 36
; AccumOffset: 36
; Occupancy: 8
; WaveLimiterHint : 1
; COMPUTE_PGM_RSRC2:SCRATCH_EN: 0
; COMPUTE_PGM_RSRC2:USER_SGPR: 2
; COMPUTE_PGM_RSRC2:TRAP_HANDLER: 0
; COMPUTE_PGM_RSRC2:TGID_X_EN: 1
; COMPUTE_PGM_RSRC2:TGID_Y_EN: 1
; COMPUTE_PGM_RSRC2:TGID_Z_EN: 0
; COMPUTE_PGM_RSRC2:TIDIG_COMP_CNT: 1
; COMPUTE_PGM_RSRC3_GFX90A:ACCUM_OFFSET: 8
; COMPUTE_PGM_RSRC3_GFX90A:TG_SPLIT: 0
	.section	.text._ZN9rocsparseL31bsrmm_large_blockdim_kernel_extILj16ELj16ELj2EllddddEEvb20rocsparse_direction_T3_S2_llNS_24const_host_device_scalarIT7_EEPKT2_PKS2_PKT4_S2_PKT5_llS5_PT6_ll16rocsparse_order_21rocsparse_index_base_b,"axG",@progbits,_ZN9rocsparseL31bsrmm_large_blockdim_kernel_extILj16ELj16ELj2EllddddEEvb20rocsparse_direction_T3_S2_llNS_24const_host_device_scalarIT7_EEPKT2_PKS2_PKT4_S2_PKT5_llS5_PT6_ll16rocsparse_order_21rocsparse_index_base_b,comdat
	.globl	_ZN9rocsparseL31bsrmm_large_blockdim_kernel_extILj16ELj16ELj2EllddddEEvb20rocsparse_direction_T3_S2_llNS_24const_host_device_scalarIT7_EEPKT2_PKS2_PKT4_S2_PKT5_llS5_PT6_ll16rocsparse_order_21rocsparse_index_base_b ; -- Begin function _ZN9rocsparseL31bsrmm_large_blockdim_kernel_extILj16ELj16ELj2EllddddEEvb20rocsparse_direction_T3_S2_llNS_24const_host_device_scalarIT7_EEPKT2_PKS2_PKT4_S2_PKT5_llS5_PT6_ll16rocsparse_order_21rocsparse_index_base_b
	.p2align	8
	.type	_ZN9rocsparseL31bsrmm_large_blockdim_kernel_extILj16ELj16ELj2EllddddEEvb20rocsparse_direction_T3_S2_llNS_24const_host_device_scalarIT7_EEPKT2_PKS2_PKT4_S2_PKT5_llS5_PT6_ll16rocsparse_order_21rocsparse_index_base_b,@function
_ZN9rocsparseL31bsrmm_large_blockdim_kernel_extILj16ELj16ELj2EllddddEEvb20rocsparse_direction_T3_S2_llNS_24const_host_device_scalarIT7_EEPKT2_PKS2_PKT4_S2_PKT5_llS5_PT6_ll16rocsparse_order_21rocsparse_index_base_b: ; @_ZN9rocsparseL31bsrmm_large_blockdim_kernel_extILj16ELj16ELj2EllddddEEvb20rocsparse_direction_T3_S2_llNS_24const_host_device_scalarIT7_EEPKT2_PKS2_PKT4_S2_PKT5_llS5_PT6_ll16rocsparse_order_21rocsparse_index_base_b
; %bb.0:
	s_load_dwordx4 s[16:19], s[0:1], 0x88
	s_load_dwordx2 s[10:11], s[0:1], 0x28
	s_load_dwordx2 s[4:5], s[0:1], 0x68
	s_mov_b32 s6, s3
	s_waitcnt lgkmcnt(0)
	s_bitcmp1_b32 s18, 0
	s_cselect_b64 s[12:13], -1, 0
	s_xor_b64 s[8:9], s[12:13], -1
	s_and_b64 vcc, exec, s[12:13]
	v_mov_b64_e32 v[4:5], s[10:11]
	s_cbranch_vccnz .LBB22_2
; %bb.1:
	v_mov_b64_e32 v[2:3], s[10:11]
	flat_load_dwordx2 v[4:5], v[2:3]
.LBB22_2:
	s_andn2_b64 vcc, exec, s[8:9]
	v_mov_b64_e32 v[6:7], s[4:5]
	s_cbranch_vccnz .LBB22_4
; %bb.3:
	v_mov_b64_e32 v[2:3], s[4:5]
	flat_load_dwordx2 v[6:7], v[2:3]
.LBB22_4:
	s_waitcnt vmcnt(0) lgkmcnt(0)
	v_cmp_neq_f64_e32 vcc, 0, v[4:5]
	v_cmp_neq_f64_e64 s[4:5], 1.0, v[6:7]
	s_mov_b64 s[18:19], 0
	s_or_b64 s[4:5], vcc, s[4:5]
	s_and_saveexec_b64 s[8:9], s[4:5]
	s_cbranch_execz .LBB22_51
; %bb.5:
	s_load_dwordx4 s[12:15], s[0:1], 0x8
	s_load_dwordx2 s[8:9], s[0:1], 0x30
	s_ashr_i32 s3, s2, 31
	v_mov_b64_e32 v[2:3], s[2:3]
	s_waitcnt lgkmcnt(0)
	v_cmp_le_i64_e32 vcc, s[12:13], v[2:3]
	v_cmp_gt_i64_e64 s[4:5], s[12:13], v[2:3]
	s_cbranch_vccnz .LBB22_7
; %bb.6:
	s_lshl_b64 s[10:11], s[2:3], 3
	s_add_u32 s10, s8, s10
	s_addc_u32 s11, s9, s11
	s_load_dwordx2 s[10:11], s[10:11], 0x0
	s_waitcnt lgkmcnt(0)
	s_sub_u32 s18, s10, s17
	s_subb_u32 s19, s11, 0
.LBB22_7:
	s_andn2_b64 vcc, exec, s[4:5]
	s_mov_b64 s[34:35], 0
	s_cbranch_vccnz .LBB22_9
; %bb.8:
	s_lshl_b64 s[10:11], s[2:3], 3
	s_add_u32 s8, s8, s10
	s_addc_u32 s9, s9, s11
	s_load_dwordx2 s[8:9], s[8:9], 0x8
	s_waitcnt lgkmcnt(0)
	s_sub_u32 s34, s8, s17
	s_subb_u32 s35, s9, 0
.LBB22_9:
	s_load_dwordx2 s[28:29], s[0:1], 0x70
	s_load_dwordx2 s[30:31], s[0:1], 0x48
	v_bfe_u32 v2, v0, 10, 10
	v_lshl_add_u32 v10, s6, 5, v2
	v_mov_b32_e32 v11, 0
	v_mov_b64_e32 v[12:13], s[34:35]
	v_add_u32_e32 v8, 16, v10
	v_mov_b32_e32 v9, v11
	v_and_b32_e32 v0, 0x3ff, v0
	v_mov_b32_e32 v1, v11
	v_cmp_ge_i64_e32 vcc, s[18:19], v[12:13]
	s_waitcnt lgkmcnt(0)
	v_cmp_gt_i64_e64 s[6:7], s[30:31], v[0:1]
	v_cmp_gt_i64_e64 s[8:9], s[14:15], v[10:11]
	;; [unrolled: 1-line block ×3, first 2 shown]
	s_cbranch_vccnz .LBB22_27
; %bb.10:
	s_load_dwordx4 s[24:27], s[0:1], 0x38
	s_load_dwordx2 s[38:39], s[0:1], 0x0
	s_mul_i32 s3, s30, s31
	s_mul_hi_u32 s12, s30, s30
	v_mov_b32_e32 v3, v11
	s_add_i32 s12, s12, s3
	v_cmp_gt_i64_e32 vcc, s[30:31], v[2:3]
	s_add_i32 s3, s12, s3
	s_and_b64 s[36:37], s[6:7], vcc
	s_waitcnt lgkmcnt(0)
	s_bitcmp1_b32 s38, 0
	s_cselect_b64 s[12:13], -1, 0
	s_cmp_eq_u32 s39, 0
	v_mad_u64_u32 v[16:17], s[38:39], s30, v2, 0
	v_mov_b32_e32 v18, v17
	v_lshlrev_b32_e32 v12, 3, v2
	v_lshlrev_b32_e32 v26, 7, v2
	v_mad_u64_u32 v[2:3], s[38:39], s31, v2, v[18:19]
	v_mov_b32_e32 v17, v2
	s_load_dwordx4 s[20:23], s[0:1], 0x50
	v_lshl_add_u64 v[2:3], v[16:17], 3, s[26:27]
	v_mad_u64_u32 v[16:17], s[38:39], s30, v0, 0
	v_mov_b32_e32 v18, v17
	v_mad_u64_u32 v[18:19], s[38:39], s31, v0, v[18:19]
	v_mov_b32_e32 v17, v18
	v_lshl_add_u64 v[16:17], v[16:17], 3, s[26:27]
	v_mov_b32_e32 v13, v11
	v_add_u32_e32 v24, 0x1000, v12
	v_lshl_add_u64 v[12:13], v[16:17], 0, v[12:13]
	s_waitcnt lgkmcnt(0)
	v_mad_u64_u32 v[16:17], s[26:27], s22, v10, 0
	v_mov_b32_e32 v18, v17
	v_mad_u64_u32 v[18:19], s[26:27], s23, v10, v[18:19]
	v_mov_b32_e32 v17, v18
	v_mad_u64_u32 v[18:19], s[26:27], s22, v8, 0
	v_lshlrev_b32_e32 v22, 3, v0
	v_mov_b32_e32 v23, v11
	v_mov_b32_e32 v20, v19
	v_lshl_add_u64 v[14:15], s[20:21], 0, v[22:23]
	v_lshl_add_u64 v[2:3], v[2:3], 0, v[22:23]
	s_cselect_b64 vcc, -1, 0
	v_lshlrev_b32_e32 v23, 7, v0
	v_cmp_gt_i64_e64 s[38:39], s[30:31], 0
	v_mad_u64_u32 v[20:21], s[26:27], s23, v8, v[20:21]
	s_mul_i32 s33, s30, s30
	v_mov_b32_e32 v19, v20
	s_and_b64 s[26:27], s[8:9], s[38:39]
	s_and_b64 s[38:39], s[10:11], s[38:39]
	v_cndmask_b32_e32 v21, v3, v13, vcc
	v_cndmask_b32_e32 v20, v2, v12, vcc
	v_add_u32_e32 v27, 0x1000, v23
	v_add_u32_e32 v28, 0x800, v26
	v_mov_b32_e32 v12, v11
	v_mov_b32_e32 v13, v11
	;; [unrolled: 1-line block ×4, first 2 shown]
	v_add_u32_e32 v29, v24, v23
	v_add_u32_e32 v30, v22, v26
	s_branch .LBB22_13
.LBB22_11:                              ;   in Loop: Header=BB22_13 Depth=1
	s_or_b64 exec, exec, s[42:43]
.LBB22_12:                              ;   in Loop: Header=BB22_13 Depth=1
	s_or_b64 exec, exec, s[40:41]
	s_add_u32 s18, s18, 1
	s_addc_u32 s19, s19, 0
	v_mov_b64_e32 v[22:23], s[34:35]
	v_cmp_ge_i64_e32 vcc, s[18:19], v[22:23]
	s_barrier
	s_cbranch_vccnz .LBB22_28
.LBB22_13:                              ; =>This Loop Header: Depth=1
                                        ;     Child Loop BB22_23 Depth 2
                                        ;     Child Loop BB22_26 Depth 2
	s_and_saveexec_b64 s[40:41], s[6:7]
	s_cbranch_execz .LBB22_18
; %bb.14:                               ;   in Loop: Header=BB22_13 Depth=1
	s_lshl_b64 s[42:43], s[18:19], 3
	s_add_u32 s42, s24, s42
	s_addc_u32 s43, s25, s43
	s_load_dwordx2 s[42:43], s[42:43], 0x0
	v_mov_b32_e32 v22, s30
	s_waitcnt lgkmcnt(0)
	s_sub_u32 s44, s42, s17
	s_subb_u32 s43, s43, 0
	s_mul_i32 s46, s44, s31
	s_mul_i32 s43, s43, s30
	s_mul_hi_u32 s45, s44, s30
	s_add_i32 s46, s46, s43
	s_mul_i32 s42, s44, s30
	s_add_i32 s43, s46, s45
	v_mad_u64_u32 v[22:23], s[44:45], s44, v22, v[0:1]
	v_add_u32_e32 v23, s46, v23
	v_mul_lo_u32 v24, v23, s22
	v_mul_lo_u32 v25, v22, s23
	v_mad_u64_u32 v[22:23], s[44:45], v22, s22, 0
	v_add3_u32 v23, v23, v25, v24
	v_lshl_add_u64 v[22:23], v[22:23], 3, s[20:21]
	v_lshl_add_u64 v[24:25], s[42:43], 3, v[14:15]
	s_and_saveexec_b64 s[42:43], s[8:9]
	s_cbranch_execz .LBB22_16
; %bb.15:                               ;   in Loop: Header=BB22_13 Depth=1
	v_lshl_add_u64 v[32:33], v[10:11], 3, v[22:23]
	v_lshl_add_u64 v[34:35], v[16:17], 3, v[24:25]
	v_cndmask_b32_e64 v33, v33, v35, s[12:13]
	v_cndmask_b32_e64 v32, v32, v34, s[12:13]
	global_load_dwordx2 v[32:33], v[32:33], off
	s_waitcnt vmcnt(0)
	ds_write_b64 v30, v[32:33]
.LBB22_16:                              ;   in Loop: Header=BB22_13 Depth=1
	s_or_b64 exec, exec, s[42:43]
	s_and_b64 exec, exec, s[10:11]
	s_cbranch_execz .LBB22_18
; %bb.17:                               ;   in Loop: Header=BB22_13 Depth=1
	v_lshl_add_u64 v[24:25], v[18:19], 3, v[24:25]
	v_lshl_add_u64 v[22:23], v[8:9], 3, v[22:23]
	v_cndmask_b32_e64 v23, v23, v25, s[12:13]
	v_cndmask_b32_e64 v22, v22, v24, s[12:13]
	global_load_dwordx2 v[22:23], v[22:23], off
	s_waitcnt vmcnt(0)
	ds_write_b64 v30, v[22:23] offset:2048
.LBB22_18:                              ;   in Loop: Header=BB22_13 Depth=1
	s_or_b64 exec, exec, s[40:41]
	s_and_saveexec_b64 s[40:41], s[36:37]
	s_cbranch_execz .LBB22_20
; %bb.19:                               ;   in Loop: Header=BB22_13 Depth=1
	s_mul_i32 s42, s33, s19
	s_mul_hi_u32 s43, s33, s18
	s_add_i32 s42, s43, s42
	s_mul_i32 s43, s3, s18
	s_add_i32 s43, s42, s43
	s_mul_i32 s42, s33, s18
	v_lshl_add_u64 v[22:23], s[42:43], 3, v[20:21]
	global_load_dwordx2 v[22:23], v[22:23], off
	s_waitcnt vmcnt(0)
	ds_write_b64 v29, v[22:23]
.LBB22_20:                              ;   in Loop: Header=BB22_13 Depth=1
	s_or_b64 exec, exec, s[40:41]
	s_waitcnt lgkmcnt(0)
	s_barrier
	s_and_saveexec_b64 s[40:41], s[6:7]
	s_cbranch_execz .LBB22_12
; %bb.21:                               ;   in Loop: Header=BB22_13 Depth=1
	s_and_saveexec_b64 s[42:43], s[26:27]
	s_cbranch_execz .LBB22_24
; %bb.22:                               ;   in Loop: Header=BB22_13 Depth=1
	v_mov_b32_e32 v22, v27
	v_mov_b32_e32 v23, v26
	s_mov_b64 s[44:45], s[30:31]
.LBB22_23:                              ;   Parent Loop BB22_13 Depth=1
                                        ; =>  This Inner Loop Header: Depth=2
	ds_read_b64 v[24:25], v22
	ds_read_b64 v[32:33], v23
	s_add_u32 s44, s44, -1
	s_addc_u32 s45, s45, -1
	v_add_u32_e32 v23, 8, v23
	v_add_u32_e32 v22, 8, v22
	s_cmp_lg_u64 s[44:45], 0
	s_waitcnt lgkmcnt(0)
	v_fmac_f64_e32 v[12:13], v[24:25], v[32:33]
	s_cbranch_scc1 .LBB22_23
.LBB22_24:                              ;   in Loop: Header=BB22_13 Depth=1
	s_or_b64 exec, exec, s[42:43]
	s_and_saveexec_b64 s[42:43], s[38:39]
	s_cbranch_execz .LBB22_11
; %bb.25:                               ;   in Loop: Header=BB22_13 Depth=1
	v_mov_b32_e32 v22, v27
	v_mov_b32_e32 v23, v28
	s_mov_b64 s[44:45], s[30:31]
.LBB22_26:                              ;   Parent Loop BB22_13 Depth=1
                                        ; =>  This Inner Loop Header: Depth=2
	ds_read_b64 v[24:25], v22
	ds_read_b64 v[32:33], v23
	s_add_u32 s44, s44, -1
	s_addc_u32 s45, s45, -1
	v_add_u32_e32 v23, 8, v23
	v_add_u32_e32 v22, 8, v22
	s_cmp_lg_u64 s[44:45], 0
	s_waitcnt lgkmcnt(0)
	v_fmac_f64_e32 v[2:3], v[24:25], v[32:33]
	s_cbranch_scc1 .LBB22_26
	s_branch .LBB22_11
.LBB22_27:
	v_mov_b32_e32 v12, v11
	v_mov_b32_e32 v13, v11
	;; [unrolled: 1-line block ×4, first 2 shown]
.LBB22_28:
	s_and_b64 s[4:5], s[4:5], s[6:7]
	s_and_b64 exec, exec, s[4:5]
	s_cbranch_execz .LBB22_51
; %bb.29:
	v_mov_b32_e32 v14, s2
	v_mad_u64_u32 v[14:15], s[4:5], s30, v14, v[0:1]
	s_load_dwordx2 s[4:5], s[0:1], 0x78
	s_mul_i32 s2, s31, s2
	v_add_u32_e32 v15, s2, v15
	s_cmp_lg_u32 s16, 1
	v_cmp_neq_f64_e64 s[0:1], 0, v[6:7]
	s_waitcnt lgkmcnt(0)
	v_mul_lo_u32 v16, s5, v14
	v_mul_lo_u32 v17, s4, v15
	v_mad_u64_u32 v[0:1], s[6:7], s4, v14, 0
	v_add3_u32 v1, v1, v17, v16
	s_cselect_b64 s[2:3], -1, 0
	v_lshl_add_u64 v[0:1], v[0:1], 3, s[28:29]
	v_lshl_add_u64 v[14:15], v[14:15], 3, s[28:29]
	v_cmp_gt_i64_e32 vcc, s[14:15], v[10:11]
	s_and_saveexec_b64 s[6:7], vcc
	s_cbranch_execz .LBB22_40
; %bb.30:
	s_and_saveexec_b64 s[8:9], s[0:1]
	s_xor_b64 s[8:9], exec, s[8:9]
	s_cbranch_execz .LBB22_35
; %bb.31:
	s_mov_b64 s[10:11], -1
	s_and_b64 vcc, exec, s[2:3]
	s_cbranch_vccz .LBB22_33
; %bb.32:
	v_lshl_add_u64 v[16:17], v[10:11], 3, v[0:1]
	global_load_dwordx2 v[18:19], v[16:17], off
	v_mul_f64 v[20:21], v[4:5], v[12:13]
	s_mov_b64 s[10:11], 0
	s_waitcnt vmcnt(0)
	v_fmac_f64_e32 v[20:21], v[6:7], v[18:19]
	global_store_dwordx2 v[16:17], v[20:21], off
.LBB22_33:
	s_andn2_b64 vcc, exec, s[10:11]
	s_cbranch_vccnz .LBB22_35
; %bb.34:
	v_mad_u64_u32 v[16:17], s[10:11], s4, v10, 0
	v_mov_b32_e32 v18, v17
	v_mad_u64_u32 v[10:11], s[10:11], s5, v10, v[18:19]
	v_mov_b32_e32 v17, v10
	v_lshl_add_u64 v[10:11], v[16:17], 3, v[14:15]
	global_load_dwordx2 v[16:17], v[10:11], off
	v_mul_f64 v[18:19], v[4:5], v[12:13]
	s_waitcnt vmcnt(0)
	v_fmac_f64_e32 v[18:19], v[6:7], v[16:17]
	global_store_dwordx2 v[10:11], v[18:19], off
                                        ; implicit-def: $vgpr10_vgpr11
.LBB22_35:
	s_andn2_saveexec_b64 s[8:9], s[8:9]
	s_cbranch_execz .LBB22_40
; %bb.36:
	v_mul_f64 v[12:13], v[4:5], v[12:13]
	s_mov_b64 s[8:9], -1
	s_and_b64 vcc, exec, s[2:3]
	s_cbranch_vccz .LBB22_38
; %bb.37:
	v_lshl_add_u64 v[16:17], v[10:11], 3, v[0:1]
	global_store_dwordx2 v[16:17], v[12:13], off
	s_mov_b64 s[8:9], 0
.LBB22_38:
	s_andn2_b64 vcc, exec, s[8:9]
	s_cbranch_vccnz .LBB22_40
; %bb.39:
	v_mad_u64_u32 v[16:17], s[8:9], s4, v10, 0
	v_mov_b32_e32 v18, v17
	v_mad_u64_u32 v[10:11], s[8:9], s5, v10, v[18:19]
	v_mov_b32_e32 v17, v10
	v_lshl_add_u64 v[10:11], v[16:17], 3, v[14:15]
	global_store_dwordx2 v[10:11], v[12:13], off
.LBB22_40:
	s_or_b64 exec, exec, s[6:7]
	v_cmp_gt_i64_e32 vcc, s[14:15], v[8:9]
	s_and_b64 exec, exec, vcc
	s_cbranch_execz .LBB22_51
; %bb.41:
	v_cndmask_b32_e64 v10, 0, 1, s[2:3]
	v_cmp_ne_u32_e64 s[2:3], 1, v10
	s_and_saveexec_b64 s[6:7], s[0:1]
	s_xor_b64 s[0:1], exec, s[6:7]
	s_cbranch_execz .LBB22_46
; %bb.42:
	s_and_b64 vcc, exec, s[2:3]
	s_mov_b64 s[6:7], -1
	s_cbranch_vccnz .LBB22_44
; %bb.43:
	v_lshl_add_u64 v[0:1], v[8:9], 3, v[0:1]
	global_load_dwordx2 v[10:11], v[0:1], off
	v_mul_f64 v[12:13], v[4:5], v[2:3]
	s_mov_b64 s[6:7], 0
	s_waitcnt vmcnt(0)
	v_fmac_f64_e32 v[12:13], v[6:7], v[10:11]
	global_store_dwordx2 v[0:1], v[12:13], off
.LBB22_44:
	s_andn2_b64 vcc, exec, s[6:7]
                                        ; implicit-def: $vgpr0_vgpr1
	s_cbranch_vccnz .LBB22_46
; %bb.45:
	v_mad_u64_u32 v[0:1], s[6:7], s4, v8, 0
	v_mov_b32_e32 v10, v1
	v_mad_u64_u32 v[8:9], s[6:7], s5, v8, v[10:11]
	v_mov_b32_e32 v1, v8
	v_lshl_add_u64 v[0:1], v[0:1], 3, v[14:15]
	global_load_dwordx2 v[8:9], v[0:1], off
	v_mul_f64 v[2:3], v[4:5], v[2:3]
                                        ; implicit-def: $vgpr14_vgpr15
                                        ; implicit-def: $vgpr4_vgpr5
	s_waitcnt vmcnt(0)
	v_fmac_f64_e32 v[2:3], v[6:7], v[8:9]
	global_store_dwordx2 v[0:1], v[2:3], off
                                        ; implicit-def: $vgpr0_vgpr1_vgpr2_vgpr3
                                        ; implicit-def: $vgpr8_vgpr9
                                        ; implicit-def: $vgpr0_vgpr1
.LBB22_46:
	s_andn2_saveexec_b64 s[0:1], s[0:1]
	s_cbranch_execz .LBB22_51
; %bb.47:
	v_mul_f64 v[2:3], v[4:5], v[2:3]
	s_and_b64 vcc, exec, s[2:3]
	s_mov_b64 s[0:1], -1
	s_cbranch_vccnz .LBB22_49
; %bb.48:
	v_lshl_add_u64 v[0:1], v[8:9], 3, v[0:1]
	s_mov_b64 s[0:1], 0
	global_store_dwordx2 v[0:1], v[2:3], off
.LBB22_49:
	s_andn2_b64 vcc, exec, s[0:1]
	s_cbranch_vccnz .LBB22_51
; %bb.50:
	v_mad_u64_u32 v[0:1], s[0:1], s4, v8, 0
	v_mov_b32_e32 v4, v1
	v_mad_u64_u32 v[4:5], s[0:1], s5, v8, v[4:5]
	v_mov_b32_e32 v1, v4
	v_lshl_add_u64 v[0:1], v[0:1], 3, v[14:15]
	global_store_dwordx2 v[0:1], v[2:3], off
.LBB22_51:
	s_endpgm
	.section	.rodata,"a",@progbits
	.p2align	6, 0x0
	.amdhsa_kernel _ZN9rocsparseL31bsrmm_large_blockdim_kernel_extILj16ELj16ELj2EllddddEEvb20rocsparse_direction_T3_S2_llNS_24const_host_device_scalarIT7_EEPKT2_PKS2_PKT4_S2_PKT5_llS5_PT6_ll16rocsparse_order_21rocsparse_index_base_b
		.amdhsa_group_segment_fixed_size 6144
		.amdhsa_private_segment_fixed_size 0
		.amdhsa_kernarg_size 148
		.amdhsa_user_sgpr_count 2
		.amdhsa_user_sgpr_dispatch_ptr 0
		.amdhsa_user_sgpr_queue_ptr 0
		.amdhsa_user_sgpr_kernarg_segment_ptr 1
		.amdhsa_user_sgpr_dispatch_id 0
		.amdhsa_user_sgpr_kernarg_preload_length 0
		.amdhsa_user_sgpr_kernarg_preload_offset 0
		.amdhsa_user_sgpr_private_segment_size 0
		.amdhsa_uses_dynamic_stack 0
		.amdhsa_enable_private_segment 0
		.amdhsa_system_sgpr_workgroup_id_x 1
		.amdhsa_system_sgpr_workgroup_id_y 1
		.amdhsa_system_sgpr_workgroup_id_z 0
		.amdhsa_system_sgpr_workgroup_info 0
		.amdhsa_system_vgpr_workitem_id 1
		.amdhsa_next_free_vgpr 36
		.amdhsa_next_free_sgpr 47
		.amdhsa_accum_offset 36
		.amdhsa_reserve_vcc 1
		.amdhsa_float_round_mode_32 0
		.amdhsa_float_round_mode_16_64 0
		.amdhsa_float_denorm_mode_32 3
		.amdhsa_float_denorm_mode_16_64 3
		.amdhsa_dx10_clamp 1
		.amdhsa_ieee_mode 1
		.amdhsa_fp16_overflow 0
		.amdhsa_tg_split 0
		.amdhsa_exception_fp_ieee_invalid_op 0
		.amdhsa_exception_fp_denorm_src 0
		.amdhsa_exception_fp_ieee_div_zero 0
		.amdhsa_exception_fp_ieee_overflow 0
		.amdhsa_exception_fp_ieee_underflow 0
		.amdhsa_exception_fp_ieee_inexact 0
		.amdhsa_exception_int_div_zero 0
	.end_amdhsa_kernel
	.section	.text._ZN9rocsparseL31bsrmm_large_blockdim_kernel_extILj16ELj16ELj2EllddddEEvb20rocsparse_direction_T3_S2_llNS_24const_host_device_scalarIT7_EEPKT2_PKS2_PKT4_S2_PKT5_llS5_PT6_ll16rocsparse_order_21rocsparse_index_base_b,"axG",@progbits,_ZN9rocsparseL31bsrmm_large_blockdim_kernel_extILj16ELj16ELj2EllddddEEvb20rocsparse_direction_T3_S2_llNS_24const_host_device_scalarIT7_EEPKT2_PKS2_PKT4_S2_PKT5_llS5_PT6_ll16rocsparse_order_21rocsparse_index_base_b,comdat
.Lfunc_end22:
	.size	_ZN9rocsparseL31bsrmm_large_blockdim_kernel_extILj16ELj16ELj2EllddddEEvb20rocsparse_direction_T3_S2_llNS_24const_host_device_scalarIT7_EEPKT2_PKS2_PKT4_S2_PKT5_llS5_PT6_ll16rocsparse_order_21rocsparse_index_base_b, .Lfunc_end22-_ZN9rocsparseL31bsrmm_large_blockdim_kernel_extILj16ELj16ELj2EllddddEEvb20rocsparse_direction_T3_S2_llNS_24const_host_device_scalarIT7_EEPKT2_PKS2_PKT4_S2_PKT5_llS5_PT6_ll16rocsparse_order_21rocsparse_index_base_b
                                        ; -- End function
	.set _ZN9rocsparseL31bsrmm_large_blockdim_kernel_extILj16ELj16ELj2EllddddEEvb20rocsparse_direction_T3_S2_llNS_24const_host_device_scalarIT7_EEPKT2_PKS2_PKT4_S2_PKT5_llS5_PT6_ll16rocsparse_order_21rocsparse_index_base_b.num_vgpr, 36
	.set _ZN9rocsparseL31bsrmm_large_blockdim_kernel_extILj16ELj16ELj2EllddddEEvb20rocsparse_direction_T3_S2_llNS_24const_host_device_scalarIT7_EEPKT2_PKS2_PKT4_S2_PKT5_llS5_PT6_ll16rocsparse_order_21rocsparse_index_base_b.num_agpr, 0
	.set _ZN9rocsparseL31bsrmm_large_blockdim_kernel_extILj16ELj16ELj2EllddddEEvb20rocsparse_direction_T3_S2_llNS_24const_host_device_scalarIT7_EEPKT2_PKS2_PKT4_S2_PKT5_llS5_PT6_ll16rocsparse_order_21rocsparse_index_base_b.numbered_sgpr, 47
	.set _ZN9rocsparseL31bsrmm_large_blockdim_kernel_extILj16ELj16ELj2EllddddEEvb20rocsparse_direction_T3_S2_llNS_24const_host_device_scalarIT7_EEPKT2_PKS2_PKT4_S2_PKT5_llS5_PT6_ll16rocsparse_order_21rocsparse_index_base_b.num_named_barrier, 0
	.set _ZN9rocsparseL31bsrmm_large_blockdim_kernel_extILj16ELj16ELj2EllddddEEvb20rocsparse_direction_T3_S2_llNS_24const_host_device_scalarIT7_EEPKT2_PKS2_PKT4_S2_PKT5_llS5_PT6_ll16rocsparse_order_21rocsparse_index_base_b.private_seg_size, 0
	.set _ZN9rocsparseL31bsrmm_large_blockdim_kernel_extILj16ELj16ELj2EllddddEEvb20rocsparse_direction_T3_S2_llNS_24const_host_device_scalarIT7_EEPKT2_PKS2_PKT4_S2_PKT5_llS5_PT6_ll16rocsparse_order_21rocsparse_index_base_b.uses_vcc, 1
	.set _ZN9rocsparseL31bsrmm_large_blockdim_kernel_extILj16ELj16ELj2EllddddEEvb20rocsparse_direction_T3_S2_llNS_24const_host_device_scalarIT7_EEPKT2_PKS2_PKT4_S2_PKT5_llS5_PT6_ll16rocsparse_order_21rocsparse_index_base_b.uses_flat_scratch, 0
	.set _ZN9rocsparseL31bsrmm_large_blockdim_kernel_extILj16ELj16ELj2EllddddEEvb20rocsparse_direction_T3_S2_llNS_24const_host_device_scalarIT7_EEPKT2_PKS2_PKT4_S2_PKT5_llS5_PT6_ll16rocsparse_order_21rocsparse_index_base_b.has_dyn_sized_stack, 0
	.set _ZN9rocsparseL31bsrmm_large_blockdim_kernel_extILj16ELj16ELj2EllddddEEvb20rocsparse_direction_T3_S2_llNS_24const_host_device_scalarIT7_EEPKT2_PKS2_PKT4_S2_PKT5_llS5_PT6_ll16rocsparse_order_21rocsparse_index_base_b.has_recursion, 0
	.set _ZN9rocsparseL31bsrmm_large_blockdim_kernel_extILj16ELj16ELj2EllddddEEvb20rocsparse_direction_T3_S2_llNS_24const_host_device_scalarIT7_EEPKT2_PKS2_PKT4_S2_PKT5_llS5_PT6_ll16rocsparse_order_21rocsparse_index_base_b.has_indirect_call, 0
	.section	.AMDGPU.csdata,"",@progbits
; Kernel info:
; codeLenInByte = 1812
; TotalNumSgprs: 53
; NumVgprs: 36
; NumAgprs: 0
; TotalNumVgprs: 36
; ScratchSize: 0
; MemoryBound: 0
; FloatMode: 240
; IeeeMode: 1
; LDSByteSize: 6144 bytes/workgroup (compile time only)
; SGPRBlocks: 6
; VGPRBlocks: 4
; NumSGPRsForWavesPerEU: 53
; NumVGPRsForWavesPerEU: 36
; AccumOffset: 36
; Occupancy: 8
; WaveLimiterHint : 1
; COMPUTE_PGM_RSRC2:SCRATCH_EN: 0
; COMPUTE_PGM_RSRC2:USER_SGPR: 2
; COMPUTE_PGM_RSRC2:TRAP_HANDLER: 0
; COMPUTE_PGM_RSRC2:TGID_X_EN: 1
; COMPUTE_PGM_RSRC2:TGID_Y_EN: 1
; COMPUTE_PGM_RSRC2:TGID_Z_EN: 0
; COMPUTE_PGM_RSRC2:TIDIG_COMP_CNT: 1
; COMPUTE_PGM_RSRC3_GFX90A:ACCUM_OFFSET: 8
; COMPUTE_PGM_RSRC3_GFX90A:TG_SPLIT: 0
	.section	.text._ZN9rocsparseL31bsrmm_large_blockdim_kernel_extILj32ELj32ELj2EllddddEEvb20rocsparse_direction_T3_S2_llNS_24const_host_device_scalarIT7_EEPKT2_PKS2_PKT4_S2_PKT5_llS5_PT6_ll16rocsparse_order_21rocsparse_index_base_b,"axG",@progbits,_ZN9rocsparseL31bsrmm_large_blockdim_kernel_extILj32ELj32ELj2EllddddEEvb20rocsparse_direction_T3_S2_llNS_24const_host_device_scalarIT7_EEPKT2_PKS2_PKT4_S2_PKT5_llS5_PT6_ll16rocsparse_order_21rocsparse_index_base_b,comdat
	.globl	_ZN9rocsparseL31bsrmm_large_blockdim_kernel_extILj32ELj32ELj2EllddddEEvb20rocsparse_direction_T3_S2_llNS_24const_host_device_scalarIT7_EEPKT2_PKS2_PKT4_S2_PKT5_llS5_PT6_ll16rocsparse_order_21rocsparse_index_base_b ; -- Begin function _ZN9rocsparseL31bsrmm_large_blockdim_kernel_extILj32ELj32ELj2EllddddEEvb20rocsparse_direction_T3_S2_llNS_24const_host_device_scalarIT7_EEPKT2_PKS2_PKT4_S2_PKT5_llS5_PT6_ll16rocsparse_order_21rocsparse_index_base_b
	.p2align	8
	.type	_ZN9rocsparseL31bsrmm_large_blockdim_kernel_extILj32ELj32ELj2EllddddEEvb20rocsparse_direction_T3_S2_llNS_24const_host_device_scalarIT7_EEPKT2_PKS2_PKT4_S2_PKT5_llS5_PT6_ll16rocsparse_order_21rocsparse_index_base_b,@function
_ZN9rocsparseL31bsrmm_large_blockdim_kernel_extILj32ELj32ELj2EllddddEEvb20rocsparse_direction_T3_S2_llNS_24const_host_device_scalarIT7_EEPKT2_PKS2_PKT4_S2_PKT5_llS5_PT6_ll16rocsparse_order_21rocsparse_index_base_b: ; @_ZN9rocsparseL31bsrmm_large_blockdim_kernel_extILj32ELj32ELj2EllddddEEvb20rocsparse_direction_T3_S2_llNS_24const_host_device_scalarIT7_EEPKT2_PKS2_PKT4_S2_PKT5_llS5_PT6_ll16rocsparse_order_21rocsparse_index_base_b
; %bb.0:
	s_load_dwordx4 s[16:19], s[0:1], 0x88
	s_load_dwordx2 s[10:11], s[0:1], 0x28
	s_load_dwordx2 s[4:5], s[0:1], 0x68
	s_mov_b32 s6, s3
	s_waitcnt lgkmcnt(0)
	s_bitcmp1_b32 s18, 0
	s_cselect_b64 s[12:13], -1, 0
	s_xor_b64 s[8:9], s[12:13], -1
	s_and_b64 vcc, exec, s[12:13]
	v_mov_b64_e32 v[4:5], s[10:11]
	s_cbranch_vccnz .LBB23_2
; %bb.1:
	v_mov_b64_e32 v[2:3], s[10:11]
	flat_load_dwordx2 v[4:5], v[2:3]
.LBB23_2:
	s_andn2_b64 vcc, exec, s[8:9]
	v_mov_b64_e32 v[6:7], s[4:5]
	s_cbranch_vccnz .LBB23_4
; %bb.3:
	v_mov_b64_e32 v[2:3], s[4:5]
	flat_load_dwordx2 v[6:7], v[2:3]
.LBB23_4:
	s_waitcnt vmcnt(0) lgkmcnt(0)
	v_cmp_neq_f64_e32 vcc, 0, v[4:5]
	v_cmp_neq_f64_e64 s[4:5], 1.0, v[6:7]
	s_mov_b64 s[18:19], 0
	s_or_b64 s[4:5], vcc, s[4:5]
	s_and_saveexec_b64 s[8:9], s[4:5]
	s_cbranch_execz .LBB23_51
; %bb.5:
	s_load_dwordx4 s[12:15], s[0:1], 0x8
	s_load_dwordx2 s[8:9], s[0:1], 0x30
	s_ashr_i32 s3, s2, 31
	v_mov_b64_e32 v[2:3], s[2:3]
	s_waitcnt lgkmcnt(0)
	v_cmp_le_i64_e32 vcc, s[12:13], v[2:3]
	v_cmp_gt_i64_e64 s[4:5], s[12:13], v[2:3]
	s_cbranch_vccnz .LBB23_7
; %bb.6:
	s_lshl_b64 s[10:11], s[2:3], 3
	s_add_u32 s10, s8, s10
	s_addc_u32 s11, s9, s11
	s_load_dwordx2 s[10:11], s[10:11], 0x0
	s_waitcnt lgkmcnt(0)
	s_sub_u32 s18, s10, s17
	s_subb_u32 s19, s11, 0
.LBB23_7:
	s_andn2_b64 vcc, exec, s[4:5]
	s_mov_b64 s[38:39], 0
	s_cbranch_vccnz .LBB23_9
; %bb.8:
	s_lshl_b64 s[10:11], s[2:3], 3
	s_add_u32 s8, s8, s10
	s_addc_u32 s9, s9, s11
	s_load_dwordx2 s[8:9], s[8:9], 0x8
	s_waitcnt lgkmcnt(0)
	s_sub_u32 s38, s8, s17
	s_subb_u32 s39, s9, 0
.LBB23_9:
	s_load_dwordx2 s[28:29], s[0:1], 0x70
	s_load_dwordx2 s[30:31], s[0:1], 0x48
	v_bfe_u32 v2, v0, 10, 10
	v_lshl_add_u32 v10, s6, 6, v2
	v_mov_b32_e32 v11, 0
	v_mov_b64_e32 v[12:13], s[38:39]
	v_add_u32_e32 v8, 32, v10
	v_mov_b32_e32 v9, v11
	v_and_b32_e32 v0, 0x3ff, v0
	v_mov_b32_e32 v1, v11
	v_cmp_ge_i64_e32 vcc, s[18:19], v[12:13]
	s_waitcnt lgkmcnt(0)
	v_cmp_gt_i64_e64 s[6:7], s[30:31], v[0:1]
	v_cmp_gt_i64_e64 s[8:9], s[14:15], v[10:11]
	;; [unrolled: 1-line block ×3, first 2 shown]
	s_cbranch_vccnz .LBB23_27
; %bb.10:
	s_load_dwordx4 s[24:27], s[0:1], 0x38
	s_load_dwordx2 s[36:37], s[0:1], 0x0
	s_mul_i32 s3, s30, s31
	s_mul_hi_u32 s12, s30, s30
	v_mov_b32_e32 v3, v11
	s_add_i32 s12, s12, s3
	v_cmp_gt_i64_e32 vcc, s[30:31], v[2:3]
	s_add_i32 s3, s12, s3
	s_and_b64 s[34:35], s[6:7], vcc
	s_waitcnt lgkmcnt(0)
	s_bitcmp1_b32 s36, 0
	s_cselect_b64 s[12:13], -1, 0
	s_cmp_eq_u32 s37, 0
	v_mad_u64_u32 v[16:17], s[36:37], s30, v2, 0
	v_mov_b32_e32 v18, v17
	v_lshlrev_b32_e32 v12, 3, v2
	v_lshlrev_b32_e32 v28, 8, v2
	v_mad_u64_u32 v[2:3], s[36:37], s31, v2, v[18:19]
	v_mov_b32_e32 v17, v2
	s_load_dwordx4 s[20:23], s[0:1], 0x50
	v_lshl_add_u64 v[2:3], v[16:17], 3, s[26:27]
	v_mad_u64_u32 v[16:17], s[36:37], s30, v0, 0
	v_mov_b32_e32 v18, v17
	v_mad_u64_u32 v[18:19], s[36:37], s31, v0, v[18:19]
	v_mov_b32_e32 v17, v18
	v_lshl_add_u64 v[16:17], v[16:17], 3, s[26:27]
	v_mov_b32_e32 v13, v11
	v_add_u32_e32 v24, 0x4000, v12
	v_lshl_add_u64 v[12:13], v[16:17], 0, v[12:13]
	s_waitcnt lgkmcnt(0)
	v_mad_u64_u32 v[16:17], s[26:27], s22, v10, 0
	v_mov_b32_e32 v18, v17
	v_mad_u64_u32 v[18:19], s[26:27], s23, v10, v[18:19]
	v_mov_b32_e32 v17, v18
	v_mad_u64_u32 v[18:19], s[26:27], s22, v8, 0
	v_lshlrev_b32_e32 v22, 3, v0
	v_mov_b32_e32 v23, v11
	v_mov_b32_e32 v20, v19
	v_lshl_add_u64 v[14:15], s[20:21], 0, v[22:23]
	v_lshl_add_u64 v[2:3], v[2:3], 0, v[22:23]
	s_cselect_b64 vcc, -1, 0
	v_lshlrev_b32_e32 v23, 8, v0
	v_cmp_gt_i64_e64 s[36:37], s[30:31], 0
	v_mad_u64_u32 v[20:21], s[26:27], s23, v8, v[20:21]
	s_mul_i32 s33, s30, s30
	v_mov_b32_e32 v19, v20
	s_and_b64 s[26:27], s[8:9], s[36:37]
	s_and_b64 s[36:37], s[10:11], s[36:37]
	v_cndmask_b32_e32 v21, v3, v13, vcc
	v_cndmask_b32_e32 v20, v2, v12, vcc
	v_add_u32_e32 v29, 0x4000, v23
	v_add_u32_e32 v30, 0x2000, v28
	v_mov_b32_e32 v12, v11
	v_mov_b32_e32 v13, v11
	;; [unrolled: 1-line block ×4, first 2 shown]
	v_add_u32_e32 v31, v22, v28
	v_add_u32_e32 v32, v24, v23
	v_mov_b64_e32 v[22:23], s[38:39]
	s_branch .LBB23_13
.LBB23_11:                              ;   in Loop: Header=BB23_13 Depth=1
	s_or_b64 exec, exec, s[40:41]
.LBB23_12:                              ;   in Loop: Header=BB23_13 Depth=1
	s_or_b64 exec, exec, s[38:39]
	s_add_u32 s18, s18, 1
	s_addc_u32 s19, s19, 0
	v_cmp_ge_i64_e32 vcc, s[18:19], v[22:23]
	s_barrier
	s_cbranch_vccnz .LBB23_28
.LBB23_13:                              ; =>This Loop Header: Depth=1
                                        ;     Child Loop BB23_23 Depth 2
                                        ;     Child Loop BB23_26 Depth 2
	s_and_saveexec_b64 s[38:39], s[6:7]
	s_cbranch_execz .LBB23_18
; %bb.14:                               ;   in Loop: Header=BB23_13 Depth=1
	s_lshl_b64 s[40:41], s[18:19], 3
	s_add_u32 s40, s24, s40
	s_addc_u32 s41, s25, s41
	s_load_dwordx2 s[40:41], s[40:41], 0x0
	v_mov_b32_e32 v24, s30
	s_waitcnt lgkmcnt(0)
	s_sub_u32 s42, s40, s17
	s_subb_u32 s41, s41, 0
	s_mul_i32 s44, s42, s31
	s_mul_i32 s41, s41, s30
	s_mul_hi_u32 s43, s42, s30
	s_add_i32 s44, s44, s41
	s_mul_i32 s40, s42, s30
	s_add_i32 s41, s44, s43
	v_mad_u64_u32 v[24:25], s[42:43], s42, v24, v[0:1]
	v_add_u32_e32 v25, s44, v25
	v_mul_lo_u32 v26, v25, s22
	v_mul_lo_u32 v27, v24, s23
	v_mad_u64_u32 v[24:25], s[42:43], v24, s22, 0
	v_add3_u32 v25, v25, v27, v26
	v_lshl_add_u64 v[24:25], v[24:25], 3, s[20:21]
	v_lshl_add_u64 v[26:27], s[40:41], 3, v[14:15]
	s_and_saveexec_b64 s[40:41], s[8:9]
	s_cbranch_execz .LBB23_16
; %bb.15:                               ;   in Loop: Header=BB23_13 Depth=1
	v_lshl_add_u64 v[34:35], v[10:11], 3, v[24:25]
	v_lshl_add_u64 v[36:37], v[16:17], 3, v[26:27]
	v_cndmask_b32_e64 v35, v35, v37, s[12:13]
	v_cndmask_b32_e64 v34, v34, v36, s[12:13]
	global_load_dwordx2 v[34:35], v[34:35], off
	s_waitcnt vmcnt(0)
	ds_write_b64 v31, v[34:35]
.LBB23_16:                              ;   in Loop: Header=BB23_13 Depth=1
	s_or_b64 exec, exec, s[40:41]
	s_and_b64 exec, exec, s[10:11]
	s_cbranch_execz .LBB23_18
; %bb.17:                               ;   in Loop: Header=BB23_13 Depth=1
	v_lshl_add_u64 v[26:27], v[18:19], 3, v[26:27]
	v_lshl_add_u64 v[24:25], v[8:9], 3, v[24:25]
	v_cndmask_b32_e64 v25, v25, v27, s[12:13]
	v_cndmask_b32_e64 v24, v24, v26, s[12:13]
	global_load_dwordx2 v[24:25], v[24:25], off
	s_waitcnt vmcnt(0)
	ds_write_b64 v31, v[24:25] offset:8192
.LBB23_18:                              ;   in Loop: Header=BB23_13 Depth=1
	s_or_b64 exec, exec, s[38:39]
	s_and_saveexec_b64 s[38:39], s[34:35]
	s_cbranch_execz .LBB23_20
; %bb.19:                               ;   in Loop: Header=BB23_13 Depth=1
	s_mul_i32 s40, s33, s19
	s_mul_hi_u32 s41, s33, s18
	s_add_i32 s40, s41, s40
	s_mul_i32 s41, s3, s18
	s_add_i32 s41, s40, s41
	s_mul_i32 s40, s33, s18
	v_lshl_add_u64 v[24:25], s[40:41], 3, v[20:21]
	global_load_dwordx2 v[24:25], v[24:25], off
	s_waitcnt vmcnt(0)
	ds_write_b64 v32, v[24:25]
.LBB23_20:                              ;   in Loop: Header=BB23_13 Depth=1
	s_or_b64 exec, exec, s[38:39]
	s_waitcnt lgkmcnt(0)
	s_barrier
	s_and_saveexec_b64 s[38:39], s[6:7]
	s_cbranch_execz .LBB23_12
; %bb.21:                               ;   in Loop: Header=BB23_13 Depth=1
	s_and_saveexec_b64 s[40:41], s[26:27]
	s_cbranch_execz .LBB23_24
; %bb.22:                               ;   in Loop: Header=BB23_13 Depth=1
	v_mov_b32_e32 v24, v29
	v_mov_b32_e32 v25, v28
	s_mov_b64 s[42:43], s[30:31]
.LBB23_23:                              ;   Parent Loop BB23_13 Depth=1
                                        ; =>  This Inner Loop Header: Depth=2
	ds_read_b64 v[26:27], v24
	ds_read_b64 v[34:35], v25
	s_add_u32 s42, s42, -1
	s_addc_u32 s43, s43, -1
	v_add_u32_e32 v25, 8, v25
	v_add_u32_e32 v24, 8, v24
	s_cmp_lg_u64 s[42:43], 0
	s_waitcnt lgkmcnt(0)
	v_fmac_f64_e32 v[12:13], v[26:27], v[34:35]
	s_cbranch_scc1 .LBB23_23
.LBB23_24:                              ;   in Loop: Header=BB23_13 Depth=1
	s_or_b64 exec, exec, s[40:41]
	s_and_saveexec_b64 s[40:41], s[36:37]
	s_cbranch_execz .LBB23_11
; %bb.25:                               ;   in Loop: Header=BB23_13 Depth=1
	v_mov_b32_e32 v24, v29
	v_mov_b32_e32 v25, v30
	s_mov_b64 s[42:43], s[30:31]
.LBB23_26:                              ;   Parent Loop BB23_13 Depth=1
                                        ; =>  This Inner Loop Header: Depth=2
	ds_read_b64 v[26:27], v24
	ds_read_b64 v[34:35], v25
	s_add_u32 s42, s42, -1
	s_addc_u32 s43, s43, -1
	v_add_u32_e32 v25, 8, v25
	v_add_u32_e32 v24, 8, v24
	s_cmp_lg_u64 s[42:43], 0
	s_waitcnt lgkmcnt(0)
	v_fmac_f64_e32 v[2:3], v[26:27], v[34:35]
	s_cbranch_scc1 .LBB23_26
	s_branch .LBB23_11
.LBB23_27:
	v_mov_b32_e32 v12, v11
	v_mov_b32_e32 v13, v11
	;; [unrolled: 1-line block ×4, first 2 shown]
.LBB23_28:
	s_and_b64 s[4:5], s[4:5], s[6:7]
	s_and_b64 exec, exec, s[4:5]
	s_cbranch_execz .LBB23_51
; %bb.29:
	v_mov_b32_e32 v14, s2
	v_mad_u64_u32 v[14:15], s[4:5], s30, v14, v[0:1]
	s_load_dwordx2 s[4:5], s[0:1], 0x78
	s_mul_i32 s2, s31, s2
	v_add_u32_e32 v15, s2, v15
	s_cmp_lg_u32 s16, 1
	v_cmp_neq_f64_e64 s[0:1], 0, v[6:7]
	s_waitcnt lgkmcnt(0)
	v_mul_lo_u32 v16, s5, v14
	v_mul_lo_u32 v17, s4, v15
	v_mad_u64_u32 v[0:1], s[6:7], s4, v14, 0
	v_add3_u32 v1, v1, v17, v16
	s_cselect_b64 s[2:3], -1, 0
	v_lshl_add_u64 v[0:1], v[0:1], 3, s[28:29]
	v_lshl_add_u64 v[14:15], v[14:15], 3, s[28:29]
	v_cmp_gt_i64_e32 vcc, s[14:15], v[10:11]
	s_and_saveexec_b64 s[6:7], vcc
	s_cbranch_execz .LBB23_40
; %bb.30:
	s_and_saveexec_b64 s[8:9], s[0:1]
	s_xor_b64 s[8:9], exec, s[8:9]
	s_cbranch_execz .LBB23_35
; %bb.31:
	s_mov_b64 s[10:11], -1
	s_and_b64 vcc, exec, s[2:3]
	s_cbranch_vccz .LBB23_33
; %bb.32:
	v_lshl_add_u64 v[16:17], v[10:11], 3, v[0:1]
	global_load_dwordx2 v[18:19], v[16:17], off
	v_mul_f64 v[20:21], v[4:5], v[12:13]
	s_mov_b64 s[10:11], 0
	s_waitcnt vmcnt(0)
	v_fmac_f64_e32 v[20:21], v[6:7], v[18:19]
	global_store_dwordx2 v[16:17], v[20:21], off
.LBB23_33:
	s_andn2_b64 vcc, exec, s[10:11]
	s_cbranch_vccnz .LBB23_35
; %bb.34:
	v_mad_u64_u32 v[16:17], s[10:11], s4, v10, 0
	v_mov_b32_e32 v18, v17
	v_mad_u64_u32 v[10:11], s[10:11], s5, v10, v[18:19]
	v_mov_b32_e32 v17, v10
	v_lshl_add_u64 v[10:11], v[16:17], 3, v[14:15]
	global_load_dwordx2 v[16:17], v[10:11], off
	v_mul_f64 v[18:19], v[4:5], v[12:13]
	s_waitcnt vmcnt(0)
	v_fmac_f64_e32 v[18:19], v[6:7], v[16:17]
	global_store_dwordx2 v[10:11], v[18:19], off
                                        ; implicit-def: $vgpr10_vgpr11
.LBB23_35:
	s_andn2_saveexec_b64 s[8:9], s[8:9]
	s_cbranch_execz .LBB23_40
; %bb.36:
	v_mul_f64 v[12:13], v[4:5], v[12:13]
	s_mov_b64 s[8:9], -1
	s_and_b64 vcc, exec, s[2:3]
	s_cbranch_vccz .LBB23_38
; %bb.37:
	v_lshl_add_u64 v[16:17], v[10:11], 3, v[0:1]
	global_store_dwordx2 v[16:17], v[12:13], off
	s_mov_b64 s[8:9], 0
.LBB23_38:
	s_andn2_b64 vcc, exec, s[8:9]
	s_cbranch_vccnz .LBB23_40
; %bb.39:
	v_mad_u64_u32 v[16:17], s[8:9], s4, v10, 0
	v_mov_b32_e32 v18, v17
	v_mad_u64_u32 v[10:11], s[8:9], s5, v10, v[18:19]
	v_mov_b32_e32 v17, v10
	v_lshl_add_u64 v[10:11], v[16:17], 3, v[14:15]
	global_store_dwordx2 v[10:11], v[12:13], off
.LBB23_40:
	s_or_b64 exec, exec, s[6:7]
	v_cmp_gt_i64_e32 vcc, s[14:15], v[8:9]
	s_and_b64 exec, exec, vcc
	s_cbranch_execz .LBB23_51
; %bb.41:
	v_cndmask_b32_e64 v10, 0, 1, s[2:3]
	v_cmp_ne_u32_e64 s[2:3], 1, v10
	s_and_saveexec_b64 s[6:7], s[0:1]
	s_xor_b64 s[0:1], exec, s[6:7]
	s_cbranch_execz .LBB23_46
; %bb.42:
	s_and_b64 vcc, exec, s[2:3]
	s_mov_b64 s[6:7], -1
	s_cbranch_vccnz .LBB23_44
; %bb.43:
	v_lshl_add_u64 v[0:1], v[8:9], 3, v[0:1]
	global_load_dwordx2 v[10:11], v[0:1], off
	v_mul_f64 v[12:13], v[4:5], v[2:3]
	s_mov_b64 s[6:7], 0
	s_waitcnt vmcnt(0)
	v_fmac_f64_e32 v[12:13], v[6:7], v[10:11]
	global_store_dwordx2 v[0:1], v[12:13], off
.LBB23_44:
	s_andn2_b64 vcc, exec, s[6:7]
                                        ; implicit-def: $vgpr0_vgpr1
	s_cbranch_vccnz .LBB23_46
; %bb.45:
	v_mad_u64_u32 v[0:1], s[6:7], s4, v8, 0
	v_mov_b32_e32 v10, v1
	v_mad_u64_u32 v[8:9], s[6:7], s5, v8, v[10:11]
	v_mov_b32_e32 v1, v8
	v_lshl_add_u64 v[0:1], v[0:1], 3, v[14:15]
	global_load_dwordx2 v[8:9], v[0:1], off
	v_mul_f64 v[2:3], v[4:5], v[2:3]
                                        ; implicit-def: $vgpr14_vgpr15
                                        ; implicit-def: $vgpr4_vgpr5
	s_waitcnt vmcnt(0)
	v_fmac_f64_e32 v[2:3], v[6:7], v[8:9]
	global_store_dwordx2 v[0:1], v[2:3], off
                                        ; implicit-def: $vgpr0_vgpr1_vgpr2_vgpr3
                                        ; implicit-def: $vgpr8_vgpr9
                                        ; implicit-def: $vgpr0_vgpr1
.LBB23_46:
	s_andn2_saveexec_b64 s[0:1], s[0:1]
	s_cbranch_execz .LBB23_51
; %bb.47:
	v_mul_f64 v[2:3], v[4:5], v[2:3]
	s_and_b64 vcc, exec, s[2:3]
	s_mov_b64 s[0:1], -1
	s_cbranch_vccnz .LBB23_49
; %bb.48:
	v_lshl_add_u64 v[0:1], v[8:9], 3, v[0:1]
	s_mov_b64 s[0:1], 0
	global_store_dwordx2 v[0:1], v[2:3], off
.LBB23_49:
	s_andn2_b64 vcc, exec, s[0:1]
	s_cbranch_vccnz .LBB23_51
; %bb.50:
	v_mad_u64_u32 v[0:1], s[0:1], s4, v8, 0
	v_mov_b32_e32 v4, v1
	v_mad_u64_u32 v[4:5], s[0:1], s5, v8, v[4:5]
	v_mov_b32_e32 v1, v4
	v_lshl_add_u64 v[0:1], v[0:1], 3, v[14:15]
	global_store_dwordx2 v[0:1], v[2:3], off
.LBB23_51:
	s_endpgm
	.section	.rodata,"a",@progbits
	.p2align	6, 0x0
	.amdhsa_kernel _ZN9rocsparseL31bsrmm_large_blockdim_kernel_extILj32ELj32ELj2EllddddEEvb20rocsparse_direction_T3_S2_llNS_24const_host_device_scalarIT7_EEPKT2_PKS2_PKT4_S2_PKT5_llS5_PT6_ll16rocsparse_order_21rocsparse_index_base_b
		.amdhsa_group_segment_fixed_size 24576
		.amdhsa_private_segment_fixed_size 0
		.amdhsa_kernarg_size 148
		.amdhsa_user_sgpr_count 2
		.amdhsa_user_sgpr_dispatch_ptr 0
		.amdhsa_user_sgpr_queue_ptr 0
		.amdhsa_user_sgpr_kernarg_segment_ptr 1
		.amdhsa_user_sgpr_dispatch_id 0
		.amdhsa_user_sgpr_kernarg_preload_length 0
		.amdhsa_user_sgpr_kernarg_preload_offset 0
		.amdhsa_user_sgpr_private_segment_size 0
		.amdhsa_uses_dynamic_stack 0
		.amdhsa_enable_private_segment 0
		.amdhsa_system_sgpr_workgroup_id_x 1
		.amdhsa_system_sgpr_workgroup_id_y 1
		.amdhsa_system_sgpr_workgroup_id_z 0
		.amdhsa_system_sgpr_workgroup_info 0
		.amdhsa_system_vgpr_workitem_id 1
		.amdhsa_next_free_vgpr 38
		.amdhsa_next_free_sgpr 45
		.amdhsa_accum_offset 40
		.amdhsa_reserve_vcc 1
		.amdhsa_float_round_mode_32 0
		.amdhsa_float_round_mode_16_64 0
		.amdhsa_float_denorm_mode_32 3
		.amdhsa_float_denorm_mode_16_64 3
		.amdhsa_dx10_clamp 1
		.amdhsa_ieee_mode 1
		.amdhsa_fp16_overflow 0
		.amdhsa_tg_split 0
		.amdhsa_exception_fp_ieee_invalid_op 0
		.amdhsa_exception_fp_denorm_src 0
		.amdhsa_exception_fp_ieee_div_zero 0
		.amdhsa_exception_fp_ieee_overflow 0
		.amdhsa_exception_fp_ieee_underflow 0
		.amdhsa_exception_fp_ieee_inexact 0
		.amdhsa_exception_int_div_zero 0
	.end_amdhsa_kernel
	.section	.text._ZN9rocsparseL31bsrmm_large_blockdim_kernel_extILj32ELj32ELj2EllddddEEvb20rocsparse_direction_T3_S2_llNS_24const_host_device_scalarIT7_EEPKT2_PKS2_PKT4_S2_PKT5_llS5_PT6_ll16rocsparse_order_21rocsparse_index_base_b,"axG",@progbits,_ZN9rocsparseL31bsrmm_large_blockdim_kernel_extILj32ELj32ELj2EllddddEEvb20rocsparse_direction_T3_S2_llNS_24const_host_device_scalarIT7_EEPKT2_PKS2_PKT4_S2_PKT5_llS5_PT6_ll16rocsparse_order_21rocsparse_index_base_b,comdat
.Lfunc_end23:
	.size	_ZN9rocsparseL31bsrmm_large_blockdim_kernel_extILj32ELj32ELj2EllddddEEvb20rocsparse_direction_T3_S2_llNS_24const_host_device_scalarIT7_EEPKT2_PKS2_PKT4_S2_PKT5_llS5_PT6_ll16rocsparse_order_21rocsparse_index_base_b, .Lfunc_end23-_ZN9rocsparseL31bsrmm_large_blockdim_kernel_extILj32ELj32ELj2EllddddEEvb20rocsparse_direction_T3_S2_llNS_24const_host_device_scalarIT7_EEPKT2_PKS2_PKT4_S2_PKT5_llS5_PT6_ll16rocsparse_order_21rocsparse_index_base_b
                                        ; -- End function
	.set _ZN9rocsparseL31bsrmm_large_blockdim_kernel_extILj32ELj32ELj2EllddddEEvb20rocsparse_direction_T3_S2_llNS_24const_host_device_scalarIT7_EEPKT2_PKS2_PKT4_S2_PKT5_llS5_PT6_ll16rocsparse_order_21rocsparse_index_base_b.num_vgpr, 38
	.set _ZN9rocsparseL31bsrmm_large_blockdim_kernel_extILj32ELj32ELj2EllddddEEvb20rocsparse_direction_T3_S2_llNS_24const_host_device_scalarIT7_EEPKT2_PKS2_PKT4_S2_PKT5_llS5_PT6_ll16rocsparse_order_21rocsparse_index_base_b.num_agpr, 0
	.set _ZN9rocsparseL31bsrmm_large_blockdim_kernel_extILj32ELj32ELj2EllddddEEvb20rocsparse_direction_T3_S2_llNS_24const_host_device_scalarIT7_EEPKT2_PKS2_PKT4_S2_PKT5_llS5_PT6_ll16rocsparse_order_21rocsparse_index_base_b.numbered_sgpr, 45
	.set _ZN9rocsparseL31bsrmm_large_blockdim_kernel_extILj32ELj32ELj2EllddddEEvb20rocsparse_direction_T3_S2_llNS_24const_host_device_scalarIT7_EEPKT2_PKS2_PKT4_S2_PKT5_llS5_PT6_ll16rocsparse_order_21rocsparse_index_base_b.num_named_barrier, 0
	.set _ZN9rocsparseL31bsrmm_large_blockdim_kernel_extILj32ELj32ELj2EllddddEEvb20rocsparse_direction_T3_S2_llNS_24const_host_device_scalarIT7_EEPKT2_PKS2_PKT4_S2_PKT5_llS5_PT6_ll16rocsparse_order_21rocsparse_index_base_b.private_seg_size, 0
	.set _ZN9rocsparseL31bsrmm_large_blockdim_kernel_extILj32ELj32ELj2EllddddEEvb20rocsparse_direction_T3_S2_llNS_24const_host_device_scalarIT7_EEPKT2_PKS2_PKT4_S2_PKT5_llS5_PT6_ll16rocsparse_order_21rocsparse_index_base_b.uses_vcc, 1
	.set _ZN9rocsparseL31bsrmm_large_blockdim_kernel_extILj32ELj32ELj2EllddddEEvb20rocsparse_direction_T3_S2_llNS_24const_host_device_scalarIT7_EEPKT2_PKS2_PKT4_S2_PKT5_llS5_PT6_ll16rocsparse_order_21rocsparse_index_base_b.uses_flat_scratch, 0
	.set _ZN9rocsparseL31bsrmm_large_blockdim_kernel_extILj32ELj32ELj2EllddddEEvb20rocsparse_direction_T3_S2_llNS_24const_host_device_scalarIT7_EEPKT2_PKS2_PKT4_S2_PKT5_llS5_PT6_ll16rocsparse_order_21rocsparse_index_base_b.has_dyn_sized_stack, 0
	.set _ZN9rocsparseL31bsrmm_large_blockdim_kernel_extILj32ELj32ELj2EllddddEEvb20rocsparse_direction_T3_S2_llNS_24const_host_device_scalarIT7_EEPKT2_PKS2_PKT4_S2_PKT5_llS5_PT6_ll16rocsparse_order_21rocsparse_index_base_b.has_recursion, 0
	.set _ZN9rocsparseL31bsrmm_large_blockdim_kernel_extILj32ELj32ELj2EllddddEEvb20rocsparse_direction_T3_S2_llNS_24const_host_device_scalarIT7_EEPKT2_PKS2_PKT4_S2_PKT5_llS5_PT6_ll16rocsparse_order_21rocsparse_index_base_b.has_indirect_call, 0
	.section	.AMDGPU.csdata,"",@progbits
; Kernel info:
; codeLenInByte = 1812
; TotalNumSgprs: 51
; NumVgprs: 38
; NumAgprs: 0
; TotalNumVgprs: 38
; ScratchSize: 0
; MemoryBound: 0
; FloatMode: 240
; IeeeMode: 1
; LDSByteSize: 24576 bytes/workgroup (compile time only)
; SGPRBlocks: 6
; VGPRBlocks: 4
; NumSGPRsForWavesPerEU: 51
; NumVGPRsForWavesPerEU: 38
; AccumOffset: 40
; Occupancy: 8
; WaveLimiterHint : 1
; COMPUTE_PGM_RSRC2:SCRATCH_EN: 0
; COMPUTE_PGM_RSRC2:USER_SGPR: 2
; COMPUTE_PGM_RSRC2:TRAP_HANDLER: 0
; COMPUTE_PGM_RSRC2:TGID_X_EN: 1
; COMPUTE_PGM_RSRC2:TGID_Y_EN: 1
; COMPUTE_PGM_RSRC2:TGID_Z_EN: 0
; COMPUTE_PGM_RSRC2:TIDIG_COMP_CNT: 1
; COMPUTE_PGM_RSRC3_GFX90A:ACCUM_OFFSET: 9
; COMPUTE_PGM_RSRC3_GFX90A:TG_SPLIT: 0
	.section	.text._ZN9rocsparseL31bsrmm_large_blockdim_kernel_extILj8ELj8ELj2Eii21rocsparse_complex_numIfES2_S2_S2_EEvb20rocsparse_direction_T3_S4_llNS_24const_host_device_scalarIT7_EEPKT2_PKS4_PKT4_S4_PKT5_llS7_PT6_ll16rocsparse_order_21rocsparse_index_base_b,"axG",@progbits,_ZN9rocsparseL31bsrmm_large_blockdim_kernel_extILj8ELj8ELj2Eii21rocsparse_complex_numIfES2_S2_S2_EEvb20rocsparse_direction_T3_S4_llNS_24const_host_device_scalarIT7_EEPKT2_PKS4_PKT4_S4_PKT5_llS7_PT6_ll16rocsparse_order_21rocsparse_index_base_b,comdat
	.globl	_ZN9rocsparseL31bsrmm_large_blockdim_kernel_extILj8ELj8ELj2Eii21rocsparse_complex_numIfES2_S2_S2_EEvb20rocsparse_direction_T3_S4_llNS_24const_host_device_scalarIT7_EEPKT2_PKS4_PKT4_S4_PKT5_llS7_PT6_ll16rocsparse_order_21rocsparse_index_base_b ; -- Begin function _ZN9rocsparseL31bsrmm_large_blockdim_kernel_extILj8ELj8ELj2Eii21rocsparse_complex_numIfES2_S2_S2_EEvb20rocsparse_direction_T3_S4_llNS_24const_host_device_scalarIT7_EEPKT2_PKS4_PKT4_S4_PKT5_llS7_PT6_ll16rocsparse_order_21rocsparse_index_base_b
	.p2align	8
	.type	_ZN9rocsparseL31bsrmm_large_blockdim_kernel_extILj8ELj8ELj2Eii21rocsparse_complex_numIfES2_S2_S2_EEvb20rocsparse_direction_T3_S4_llNS_24const_host_device_scalarIT7_EEPKT2_PKS4_PKT4_S4_PKT5_llS7_PT6_ll16rocsparse_order_21rocsparse_index_base_b,@function
_ZN9rocsparseL31bsrmm_large_blockdim_kernel_extILj8ELj8ELj2Eii21rocsparse_complex_numIfES2_S2_S2_EEvb20rocsparse_direction_T3_S4_llNS_24const_host_device_scalarIT7_EEPKT2_PKS4_PKT4_S4_PKT5_llS7_PT6_ll16rocsparse_order_21rocsparse_index_base_b: ; @_ZN9rocsparseL31bsrmm_large_blockdim_kernel_extILj8ELj8ELj2Eii21rocsparse_complex_numIfES2_S2_S2_EEvb20rocsparse_direction_T3_S4_llNS_24const_host_device_scalarIT7_EEPKT2_PKS4_PKT4_S4_PKT5_llS7_PT6_ll16rocsparse_order_21rocsparse_index_base_b
; %bb.0:
	s_load_dwordx2 s[4:5], s[0:1], 0x20
	s_load_dwordx4 s[16:19], s[0:1], 0x80
	s_mov_b32 s6, s3
	s_add_u32 s3, s0, 32
	s_addc_u32 s7, s1, 0
	s_load_dwordx2 s[8:9], s[0:1], 0x60
	s_add_u32 s10, s0, 0x60
	s_addc_u32 s11, s1, 0
	s_waitcnt lgkmcnt(0)
	s_bitcmp1_b32 s18, 0
	s_cselect_b32 s3, s3, s4
	s_cselect_b32 s5, s7, s5
	v_mov_b32_e32 v2, s3
	s_cselect_b32 s3, s11, s9
	s_cselect_b32 s4, s10, s8
	v_mov_b32_e32 v3, s5
	v_mov_b32_e32 v4, s4
	;; [unrolled: 1-line block ×3, first 2 shown]
	flat_load_dwordx2 v[2:3], v[2:3]
	s_mov_b32 s28, 0
	flat_load_dwordx2 v[4:5], v[4:5]
	s_waitcnt vmcnt(0) lgkmcnt(0)
	v_cmp_eq_f32_e32 vcc, 0, v2
	v_cmp_eq_f32_e64 s[8:9], 0, v3
	v_cmp_eq_f32_e64 s[10:11], 1.0, v4
	v_cmp_eq_f32_e64 s[4:5], 0, v5
	s_and_b64 s[8:9], vcc, s[8:9]
	s_and_b64 s[10:11], s[10:11], s[4:5]
	s_and_b64 s[8:9], s[8:9], s[10:11]
	s_xor_b64 s[8:9], s[8:9], -1
	s_and_saveexec_b64 s[10:11], s[8:9]
	s_cbranch_execz .LBB24_47
; %bb.1:
	s_load_dwordx4 s[12:15], s[0:1], 0x0
	s_load_dwordx2 s[8:9], s[0:1], 0x28
	s_waitcnt lgkmcnt(0)
	s_cmp_lt_i32 s2, s14
	s_cselect_b64 s[18:19], -1, 0
	s_cmp_ge_i32 s2, s14
	s_cbranch_scc1 .LBB24_3
; %bb.2:
	s_ashr_i32 s3, s2, 31
	s_lshl_b64 s[10:11], s[2:3], 2
	s_add_u32 s10, s8, s10
	s_addc_u32 s11, s9, s11
	s_load_dword s3, s[10:11], 0x0
	s_waitcnt lgkmcnt(0)
	s_sub_i32 s28, s3, s17
.LBB24_3:
	s_andn2_b64 vcc, exec, s[18:19]
	s_mov_b32 s14, 0
	s_cbranch_vccnz .LBB24_5
; %bb.4:
	s_ashr_i32 s3, s2, 31
	s_lshl_b64 s[10:11], s[2:3], 2
	s_add_u32 s8, s8, s10
	s_addc_u32 s9, s9, s11
	s_load_dword s3, s[8:9], 0x4
	s_waitcnt lgkmcnt(0)
	s_sub_i32 s14, s3, s17
.LBB24_5:
	s_load_dwordx2 s[30:31], s[0:1], 0x68
	s_load_dword s3, s[0:1], 0x40
	v_bfe_u32 v10, v0, 10, 10
	v_lshl_add_u32 v8, s6, 4, v10
	v_add_u32_e32 v6, 8, v8
	v_and_b32_e32 v12, 0x3ff, v0
	s_waitcnt lgkmcnt(0)
	v_cmp_gt_i32_e32 vcc, s3, v12
	s_cmp_ge_i32 s28, s14
	v_cmp_gt_i32_e64 s[6:7], s15, v8
	v_cmp_gt_i32_e64 s[8:9], s15, v6
	s_cbranch_scc1 .LBB24_23
; %bb.6:
	s_load_dwordx4 s[20:23], s[0:1], 0x30
	s_load_dwordx4 s[24:27], s[0:1], 0x48
	v_cmp_gt_i32_e64 s[10:11], s3, v10
	s_and_b64 s[34:35], vcc, s[10:11]
	s_bitcmp1_b32 s12, 0
	v_mov_b32_e32 v0, 0x400
	v_lshlrev_b32_e32 v13, 6, v10
	s_cselect_b64 s[10:11], -1, 0
	v_lshl_add_u32 v18, v10, 3, v0
	s_cmp_eq_u32 s13, 0
	v_mad_u64_u32 v[0:1], s[12:13], s3, v10, v[12:13]
	v_mad_u64_u32 v[10:11], s[12:13], s3, v12, v[10:11]
	v_ashrrev_i32_e32 v9, 31, v8
	s_waitcnt lgkmcnt(0)
	v_mul_lo_u32 v7, s27, v8
	v_mul_lo_u32 v11, s26, v9
	v_mad_u64_u32 v[14:15], s[12:13], s26, v8, 0
	v_mad_u64_u32 v[16:17], s[12:13], s26, v6, 0
	v_add3_u32 v15, v15, v11, v7
	v_ashrrev_i32_e32 v7, 31, v6
	s_cselect_b64 s[12:13], -1, 0
	v_mul_lo_u32 v11, s27, v6
	v_mul_lo_u32 v20, s26, v7
	v_cndmask_b32_e64 v22, v0, v10, s[12:13]
	v_mov_b32_e32 v10, 0
	v_lshlrev_b32_e32 v19, 3, v12
	v_lshlrev_b32_e32 v1, 6, v12
	v_add3_u32 v17, v17, v20, v11
	v_mov_b32_e32 v11, v10
	s_mul_i32 s33, s3, s3
	v_add_u32_e32 v23, 0x400, v1
	v_add_u32_e32 v24, 0x200, v13
	;; [unrolled: 1-line block ×4, first 2 shown]
	v_mov_b64_e32 v[0:1], v[10:11]
	s_branch .LBB24_9
.LBB24_7:                               ;   in Loop: Header=BB24_9 Depth=1
	s_or_b64 exec, exec, s[36:37]
.LBB24_8:                               ;   in Loop: Header=BB24_9 Depth=1
	s_or_b64 exec, exec, s[12:13]
	s_add_i32 s28, s28, 1
	s_cmp_ge_i32 s28, s14
	; wave barrier
	s_cbranch_scc1 .LBB24_24
.LBB24_9:                               ; =>This Loop Header: Depth=1
                                        ;     Child Loop BB24_19 Depth 2
                                        ;     Child Loop BB24_22 Depth 2
	s_and_saveexec_b64 s[12:13], vcc
	s_cbranch_execz .LBB24_14
; %bb.10:                               ;   in Loop: Header=BB24_9 Depth=1
	s_ashr_i32 s29, s28, 31
	s_lshl_b64 s[36:37], s[28:29], 2
	s_add_u32 s36, s20, s36
	s_addc_u32 s37, s21, s37
	s_load_dword s29, s[36:37], 0x0
	s_waitcnt lgkmcnt(0)
	s_sub_i32 s29, s29, s17
	s_mul_i32 s29, s29, s3
	v_add_u32_e32 v20, s29, v12
	v_ashrrev_i32_e32 v21, 31, v20
	v_mul_lo_u32 v27, s27, v20
	v_mad_u64_u32 v[18:19], s[36:37], s26, v20, 0
	v_mul_lo_u32 v28, s26, v21
	v_add3_u32 v19, v19, v28, v27
	v_lshl_add_u64 v[18:19], v[18:19], 3, s[24:25]
	v_lshl_add_u64 v[20:21], v[20:21], 3, s[24:25]
	s_and_saveexec_b64 s[36:37], s[6:7]
	s_cbranch_execz .LBB24_12
; %bb.11:                               ;   in Loop: Header=BB24_9 Depth=1
	v_lshl_add_u64 v[28:29], v[8:9], 3, v[18:19]
	v_lshl_add_u64 v[30:31], v[14:15], 3, v[20:21]
	v_cndmask_b32_e64 v29, v29, v31, s[10:11]
	v_cndmask_b32_e64 v28, v28, v30, s[10:11]
	global_load_dwordx2 v[28:29], v[28:29], off
	s_waitcnt vmcnt(0)
	ds_write_b64 v25, v[28:29]
.LBB24_12:                              ;   in Loop: Header=BB24_9 Depth=1
	s_or_b64 exec, exec, s[36:37]
	s_and_b64 exec, exec, s[8:9]
	s_cbranch_execz .LBB24_14
; %bb.13:                               ;   in Loop: Header=BB24_9 Depth=1
	v_lshl_add_u64 v[20:21], v[16:17], 3, v[20:21]
	v_lshl_add_u64 v[18:19], v[6:7], 3, v[18:19]
	v_cndmask_b32_e64 v19, v19, v21, s[10:11]
	v_cndmask_b32_e64 v18, v18, v20, s[10:11]
	global_load_dwordx2 v[18:19], v[18:19], off
	s_waitcnt vmcnt(0)
	ds_write_b64 v25, v[18:19] offset:512
.LBB24_14:                              ;   in Loop: Header=BB24_9 Depth=1
	s_or_b64 exec, exec, s[12:13]
	s_and_saveexec_b64 s[12:13], s[34:35]
	s_cbranch_execz .LBB24_16
; %bb.15:                               ;   in Loop: Header=BB24_9 Depth=1
	s_mul_i32 s29, s33, s28
	v_add_u32_e32 v18, s29, v22
	v_ashrrev_i32_e32 v19, 31, v18
	v_lshl_add_u64 v[18:19], v[18:19], 3, s[22:23]
	global_load_dwordx2 v[18:19], v[18:19], off
	s_waitcnt vmcnt(0)
	ds_write_b64 v26, v[18:19]
.LBB24_16:                              ;   in Loop: Header=BB24_9 Depth=1
	s_or_b64 exec, exec, s[12:13]
	s_waitcnt lgkmcnt(0)
	; wave barrier
	s_and_saveexec_b64 s[12:13], vcc
	s_cbranch_execz .LBB24_8
; %bb.17:                               ;   in Loop: Header=BB24_9 Depth=1
	s_and_saveexec_b64 s[36:37], s[6:7]
	s_cbranch_execz .LBB24_20
; %bb.18:                               ;   in Loop: Header=BB24_9 Depth=1
	v_mov_b32_e32 v18, v23
	v_mov_b32_e32 v19, v13
	s_mov_b32 s29, s3
.LBB24_19:                              ;   Parent Loop BB24_9 Depth=1
                                        ; =>  This Inner Loop Header: Depth=2
	ds_read_b64 v[20:21], v19
	ds_read_b64 v[28:29], v18
	s_add_i32 s29, s29, -1
	v_add_u32_e32 v19, 8, v19
	v_add_u32_e32 v18, 8, v18
	s_cmp_lg_u32 s29, 0
	s_waitcnt lgkmcnt(0)
	v_xor_b32_e32 v30, 0x80000000, v29
	v_pk_fma_f32 v[10:11], v[28:29], v[20:21], v[10:11] op_sel_hi:[1,0,1]
	v_mov_b32_e32 v31, v28
	v_pk_fma_f32 v[10:11], v[30:31], v[20:21], v[10:11] op_sel:[0,1,0]
	s_cbranch_scc1 .LBB24_19
.LBB24_20:                              ;   in Loop: Header=BB24_9 Depth=1
	s_or_b64 exec, exec, s[36:37]
	s_and_saveexec_b64 s[36:37], s[8:9]
	s_cbranch_execz .LBB24_7
; %bb.21:                               ;   in Loop: Header=BB24_9 Depth=1
	v_mov_b32_e32 v18, v23
	s_mov_b32 s29, s3
	v_mov_b32_e32 v19, v24
.LBB24_22:                              ;   Parent Loop BB24_9 Depth=1
                                        ; =>  This Inner Loop Header: Depth=2
	ds_read_b64 v[20:21], v19
	ds_read_b64 v[28:29], v18
	s_add_i32 s29, s29, -1
	v_add_u32_e32 v19, 8, v19
	v_add_u32_e32 v18, 8, v18
	s_cmp_lg_u32 s29, 0
	s_waitcnt lgkmcnt(0)
	v_xor_b32_e32 v30, 0x80000000, v29
	v_pk_fma_f32 v[0:1], v[28:29], v[20:21], v[0:1] op_sel_hi:[1,0,1]
	v_mov_b32_e32 v31, v28
	v_pk_fma_f32 v[0:1], v[30:31], v[20:21], v[0:1] op_sel:[0,1,0]
	s_cbranch_scc1 .LBB24_22
	s_branch .LBB24_7
.LBB24_23:
	v_mov_b32_e32 v0, 0
	v_mov_b32_e32 v1, v0
	v_mov_b64_e32 v[10:11], v[0:1]
.LBB24_24:
	s_and_b64 s[6:7], s[18:19], vcc
	s_and_b64 exec, exec, s[6:7]
	s_cbranch_execz .LBB24_47
; %bb.25:
	s_mul_i32 s2, s3, s2
	v_add_u32_e32 v12, s2, v12
	s_load_dwordx2 s[2:3], s[0:1], 0x70
	v_cmp_neq_f32_e32 vcc, 0, v4
	s_xor_b64 s[0:1], s[4:5], -1
	v_ashrrev_i32_e32 v13, 31, v12
	s_or_b64 s[4:5], vcc, s[0:1]
	s_waitcnt lgkmcnt(0)
	v_mul_lo_u32 v7, s2, v13
	v_mul_lo_u32 v9, s3, v12
	v_mad_u64_u32 v[14:15], s[6:7], s2, v12, 0
	s_cmp_lg_u32 s16, 1
	v_add3_u32 v15, v15, v7, v9
	s_cselect_b64 s[0:1], -1, 0
	v_lshl_add_u64 v[14:15], v[14:15], 3, s[30:31]
	v_lshl_add_u64 v[12:13], v[12:13], 3, s[30:31]
	v_cmp_gt_i32_e32 vcc, s15, v8
	s_and_saveexec_b64 s[6:7], vcc
	s_cbranch_execz .LBB24_36
; %bb.26:
	v_ashrrev_i32_e32 v9, 31, v8
	s_and_saveexec_b64 s[8:9], s[4:5]
	s_xor_b64 s[8:9], exec, s[8:9]
	s_cbranch_execz .LBB24_31
; %bb.27:
	s_mov_b64 s[10:11], -1
	s_and_b64 vcc, exec, s[0:1]
	s_cbranch_vccz .LBB24_29
; %bb.28:
	v_lshl_add_u64 v[16:17], v[8:9], 3, v[14:15]
	global_load_dwordx2 v[18:19], v[16:17], off
	v_xor_b32_e32 v20, 0x80000000, v3
	v_mov_b32_e32 v21, v2
	v_pk_mul_f32 v[20:21], v[10:11], v[20:21] op_sel:[1,0]
	v_xor_b32_e32 v22, 0x80000000, v5
	v_pk_fma_f32 v[20:21], v[2:3], v[10:11], v[20:21] op_sel_hi:[1,0,1]
	v_mov_b32_e32 v23, v4
	s_mov_b64 s[10:11], 0
	s_waitcnt vmcnt(0)
	v_pk_fma_f32 v[20:21], v[4:5], v[18:19], v[20:21] op_sel_hi:[1,0,1]
	s_nop 0
	v_pk_fma_f32 v[18:19], v[22:23], v[18:19], v[20:21] op_sel:[0,1,0]
	global_store_dwordx2 v[16:17], v[18:19], off
.LBB24_29:
	s_andn2_b64 vcc, exec, s[10:11]
	s_cbranch_vccnz .LBB24_31
; %bb.30:
	v_mul_lo_u32 v7, s3, v8
	v_mul_lo_u32 v16, s2, v9
	v_mad_u64_u32 v[8:9], s[10:11], s2, v8, 0
	v_add3_u32 v9, v9, v16, v7
	v_lshl_add_u64 v[8:9], v[8:9], 3, v[12:13]
	global_load_dwordx2 v[16:17], v[8:9], off
	v_xor_b32_e32 v18, 0x80000000, v3
	v_mov_b32_e32 v19, v2
	v_pk_mul_f32 v[18:19], v[10:11], v[18:19] op_sel:[1,0]
	v_xor_b32_e32 v20, 0x80000000, v5
	v_pk_fma_f32 v[10:11], v[2:3], v[10:11], v[18:19] op_sel_hi:[1,0,1]
	v_mov_b32_e32 v21, v4
	s_waitcnt vmcnt(0)
	v_pk_fma_f32 v[10:11], v[4:5], v[16:17], v[10:11] op_sel_hi:[1,0,1]
	s_nop 0
	v_pk_fma_f32 v[10:11], v[20:21], v[16:17], v[10:11] op_sel:[0,1,0]
	global_store_dwordx2 v[8:9], v[10:11], off
                                        ; implicit-def: $vgpr10_vgpr11
                                        ; implicit-def: $vgpr8
.LBB24_31:
	s_andn2_saveexec_b64 s[8:9], s[8:9]
	s_cbranch_execz .LBB24_36
; %bb.32:
	v_xor_b32_e32 v16, 0x80000000, v3
	v_mov_b32_e32 v17, v2
	v_pk_mul_f32 v[16:17], v[10:11], v[16:17] op_sel:[1,0]
	s_mov_b64 s[8:9], -1
	v_pk_fma_f32 v[10:11], v[2:3], v[10:11], v[16:17] op_sel_hi:[1,0,1]
	s_and_b64 vcc, exec, s[0:1]
	s_cbranch_vccz .LBB24_34
; %bb.33:
	v_lshl_add_u64 v[16:17], v[8:9], 3, v[14:15]
	global_store_dwordx2 v[16:17], v[10:11], off
	s_mov_b64 s[8:9], 0
.LBB24_34:
	s_andn2_b64 vcc, exec, s[8:9]
	s_cbranch_vccnz .LBB24_36
; %bb.35:
	v_mul_lo_u32 v7, s3, v8
	v_mul_lo_u32 v16, s2, v9
	v_mad_u64_u32 v[8:9], s[8:9], s2, v8, 0
	v_add3_u32 v9, v9, v16, v7
	v_lshl_add_u64 v[8:9], v[8:9], 3, v[12:13]
	global_store_dwordx2 v[8:9], v[10:11], off
.LBB24_36:
	s_or_b64 exec, exec, s[6:7]
	v_cmp_gt_i32_e32 vcc, s15, v6
	s_and_b64 exec, exec, vcc
	s_cbranch_execz .LBB24_47
; %bb.37:
	v_cndmask_b32_e64 v8, 0, 1, s[0:1]
	v_ashrrev_i32_e32 v7, 31, v6
	v_cmp_ne_u32_e64 s[0:1], 1, v8
	s_and_saveexec_b64 s[6:7], s[4:5]
	s_xor_b64 s[4:5], exec, s[6:7]
	s_cbranch_execz .LBB24_42
; %bb.38:
	s_and_b64 vcc, exec, s[0:1]
	s_mov_b64 s[6:7], -1
	s_cbranch_vccnz .LBB24_40
; %bb.39:
	v_lshl_add_u64 v[8:9], v[6:7], 3, v[14:15]
	global_load_dwordx2 v[10:11], v[8:9], off
	v_xor_b32_e32 v14, 0x80000000, v3
	v_mov_b32_e32 v15, v2
	v_pk_mul_f32 v[14:15], v[0:1], v[14:15] op_sel:[1,0]
	v_xor_b32_e32 v16, 0x80000000, v5
	v_pk_fma_f32 v[14:15], v[2:3], v[0:1], v[14:15] op_sel_hi:[1,0,1]
	v_mov_b32_e32 v17, v4
	s_mov_b64 s[6:7], 0
	s_waitcnt vmcnt(0)
	v_pk_fma_f32 v[14:15], v[4:5], v[10:11], v[14:15] op_sel_hi:[1,0,1]
	s_nop 0
	v_pk_fma_f32 v[10:11], v[16:17], v[10:11], v[14:15] op_sel:[0,1,0]
	global_store_dwordx2 v[8:9], v[10:11], off
.LBB24_40:
	s_andn2_b64 vcc, exec, s[6:7]
                                        ; implicit-def: $vgpr14_vgpr15
	s_cbranch_vccnz .LBB24_42
; %bb.41:
	v_mul_lo_u32 v8, s3, v6
	v_mul_lo_u32 v9, s2, v7
	v_mad_u64_u32 v[6:7], s[6:7], s2, v6, 0
	v_add3_u32 v7, v7, v9, v8
	v_lshl_add_u64 v[6:7], v[6:7], 3, v[12:13]
	global_load_dwordx2 v[8:9], v[6:7], off
	v_xor_b32_e32 v10, 0x80000000, v3
	v_mov_b32_e32 v11, v2
	v_pk_mul_f32 v[10:11], v[0:1], v[10:11] op_sel:[1,0]
	v_xor_b32_e32 v12, 0x80000000, v5
	v_pk_fma_f32 v[0:1], v[2:3], v[0:1], v[10:11] op_sel_hi:[1,0,1]
	v_mov_b32_e32 v13, v4
                                        ; implicit-def: $vgpr2_vgpr3
                                        ; implicit-def: $vgpr14_vgpr15
	s_waitcnt vmcnt(0)
	v_pk_fma_f32 v[0:1], v[4:5], v[8:9], v[0:1] op_sel_hi:[1,0,1]
	s_nop 0
	v_pk_fma_f32 v[0:1], v[12:13], v[8:9], v[0:1] op_sel:[0,1,0]
	global_store_dwordx2 v[6:7], v[0:1], off
                                        ; implicit-def: $vgpr12_vgpr13
                                        ; implicit-def: $vgpr0_vgpr1
                                        ; implicit-def: $vgpr6
.LBB24_42:
	s_andn2_saveexec_b64 s[4:5], s[4:5]
	s_cbranch_execz .LBB24_47
; %bb.43:
	v_xor_b32_e32 v4, 0x80000000, v3
	v_mov_b32_e32 v5, v2
	v_pk_mul_f32 v[4:5], v[0:1], v[4:5] op_sel:[1,0]
	s_and_b64 vcc, exec, s[0:1]
	v_pk_fma_f32 v[0:1], v[2:3], v[0:1], v[4:5] op_sel_hi:[1,0,1]
	s_mov_b64 s[0:1], -1
	s_cbranch_vccnz .LBB24_45
; %bb.44:
	v_lshl_add_u64 v[2:3], v[6:7], 3, v[14:15]
	s_mov_b64 s[0:1], 0
	global_store_dwordx2 v[2:3], v[0:1], off
.LBB24_45:
	s_andn2_b64 vcc, exec, s[0:1]
	s_cbranch_vccnz .LBB24_47
; %bb.46:
	v_mul_lo_u32 v4, s3, v6
	v_mul_lo_u32 v5, s2, v7
	v_mad_u64_u32 v[2:3], s[0:1], s2, v6, 0
	v_add3_u32 v3, v3, v5, v4
	v_lshl_add_u64 v[2:3], v[2:3], 3, v[12:13]
	global_store_dwordx2 v[2:3], v[0:1], off
.LBB24_47:
	s_endpgm
	.section	.rodata,"a",@progbits
	.p2align	6, 0x0
	.amdhsa_kernel _ZN9rocsparseL31bsrmm_large_blockdim_kernel_extILj8ELj8ELj2Eii21rocsparse_complex_numIfES2_S2_S2_EEvb20rocsparse_direction_T3_S4_llNS_24const_host_device_scalarIT7_EEPKT2_PKS4_PKT4_S4_PKT5_llS7_PT6_ll16rocsparse_order_21rocsparse_index_base_b
		.amdhsa_group_segment_fixed_size 1536
		.amdhsa_private_segment_fixed_size 0
		.amdhsa_kernarg_size 140
		.amdhsa_user_sgpr_count 2
		.amdhsa_user_sgpr_dispatch_ptr 0
		.amdhsa_user_sgpr_queue_ptr 0
		.amdhsa_user_sgpr_kernarg_segment_ptr 1
		.amdhsa_user_sgpr_dispatch_id 0
		.amdhsa_user_sgpr_kernarg_preload_length 0
		.amdhsa_user_sgpr_kernarg_preload_offset 0
		.amdhsa_user_sgpr_private_segment_size 0
		.amdhsa_uses_dynamic_stack 0
		.amdhsa_enable_private_segment 0
		.amdhsa_system_sgpr_workgroup_id_x 1
		.amdhsa_system_sgpr_workgroup_id_y 1
		.amdhsa_system_sgpr_workgroup_id_z 0
		.amdhsa_system_sgpr_workgroup_info 0
		.amdhsa_system_vgpr_workitem_id 1
		.amdhsa_next_free_vgpr 32
		.amdhsa_next_free_sgpr 38
		.amdhsa_accum_offset 32
		.amdhsa_reserve_vcc 1
		.amdhsa_float_round_mode_32 0
		.amdhsa_float_round_mode_16_64 0
		.amdhsa_float_denorm_mode_32 3
		.amdhsa_float_denorm_mode_16_64 3
		.amdhsa_dx10_clamp 1
		.amdhsa_ieee_mode 1
		.amdhsa_fp16_overflow 0
		.amdhsa_tg_split 0
		.amdhsa_exception_fp_ieee_invalid_op 0
		.amdhsa_exception_fp_denorm_src 0
		.amdhsa_exception_fp_ieee_div_zero 0
		.amdhsa_exception_fp_ieee_overflow 0
		.amdhsa_exception_fp_ieee_underflow 0
		.amdhsa_exception_fp_ieee_inexact 0
		.amdhsa_exception_int_div_zero 0
	.end_amdhsa_kernel
	.section	.text._ZN9rocsparseL31bsrmm_large_blockdim_kernel_extILj8ELj8ELj2Eii21rocsparse_complex_numIfES2_S2_S2_EEvb20rocsparse_direction_T3_S4_llNS_24const_host_device_scalarIT7_EEPKT2_PKS4_PKT4_S4_PKT5_llS7_PT6_ll16rocsparse_order_21rocsparse_index_base_b,"axG",@progbits,_ZN9rocsparseL31bsrmm_large_blockdim_kernel_extILj8ELj8ELj2Eii21rocsparse_complex_numIfES2_S2_S2_EEvb20rocsparse_direction_T3_S4_llNS_24const_host_device_scalarIT7_EEPKT2_PKS4_PKT4_S4_PKT5_llS7_PT6_ll16rocsparse_order_21rocsparse_index_base_b,comdat
.Lfunc_end24:
	.size	_ZN9rocsparseL31bsrmm_large_blockdim_kernel_extILj8ELj8ELj2Eii21rocsparse_complex_numIfES2_S2_S2_EEvb20rocsparse_direction_T3_S4_llNS_24const_host_device_scalarIT7_EEPKT2_PKS4_PKT4_S4_PKT5_llS7_PT6_ll16rocsparse_order_21rocsparse_index_base_b, .Lfunc_end24-_ZN9rocsparseL31bsrmm_large_blockdim_kernel_extILj8ELj8ELj2Eii21rocsparse_complex_numIfES2_S2_S2_EEvb20rocsparse_direction_T3_S4_llNS_24const_host_device_scalarIT7_EEPKT2_PKS4_PKT4_S4_PKT5_llS7_PT6_ll16rocsparse_order_21rocsparse_index_base_b
                                        ; -- End function
	.set _ZN9rocsparseL31bsrmm_large_blockdim_kernel_extILj8ELj8ELj2Eii21rocsparse_complex_numIfES2_S2_S2_EEvb20rocsparse_direction_T3_S4_llNS_24const_host_device_scalarIT7_EEPKT2_PKS4_PKT4_S4_PKT5_llS7_PT6_ll16rocsparse_order_21rocsparse_index_base_b.num_vgpr, 32
	.set _ZN9rocsparseL31bsrmm_large_blockdim_kernel_extILj8ELj8ELj2Eii21rocsparse_complex_numIfES2_S2_S2_EEvb20rocsparse_direction_T3_S4_llNS_24const_host_device_scalarIT7_EEPKT2_PKS4_PKT4_S4_PKT5_llS7_PT6_ll16rocsparse_order_21rocsparse_index_base_b.num_agpr, 0
	.set _ZN9rocsparseL31bsrmm_large_blockdim_kernel_extILj8ELj8ELj2Eii21rocsparse_complex_numIfES2_S2_S2_EEvb20rocsparse_direction_T3_S4_llNS_24const_host_device_scalarIT7_EEPKT2_PKS4_PKT4_S4_PKT5_llS7_PT6_ll16rocsparse_order_21rocsparse_index_base_b.numbered_sgpr, 38
	.set _ZN9rocsparseL31bsrmm_large_blockdim_kernel_extILj8ELj8ELj2Eii21rocsparse_complex_numIfES2_S2_S2_EEvb20rocsparse_direction_T3_S4_llNS_24const_host_device_scalarIT7_EEPKT2_PKS4_PKT4_S4_PKT5_llS7_PT6_ll16rocsparse_order_21rocsparse_index_base_b.num_named_barrier, 0
	.set _ZN9rocsparseL31bsrmm_large_blockdim_kernel_extILj8ELj8ELj2Eii21rocsparse_complex_numIfES2_S2_S2_EEvb20rocsparse_direction_T3_S4_llNS_24const_host_device_scalarIT7_EEPKT2_PKS4_PKT4_S4_PKT5_llS7_PT6_ll16rocsparse_order_21rocsparse_index_base_b.private_seg_size, 0
	.set _ZN9rocsparseL31bsrmm_large_blockdim_kernel_extILj8ELj8ELj2Eii21rocsparse_complex_numIfES2_S2_S2_EEvb20rocsparse_direction_T3_S4_llNS_24const_host_device_scalarIT7_EEPKT2_PKS4_PKT4_S4_PKT5_llS7_PT6_ll16rocsparse_order_21rocsparse_index_base_b.uses_vcc, 1
	.set _ZN9rocsparseL31bsrmm_large_blockdim_kernel_extILj8ELj8ELj2Eii21rocsparse_complex_numIfES2_S2_S2_EEvb20rocsparse_direction_T3_S4_llNS_24const_host_device_scalarIT7_EEPKT2_PKS4_PKT4_S4_PKT5_llS7_PT6_ll16rocsparse_order_21rocsparse_index_base_b.uses_flat_scratch, 0
	.set _ZN9rocsparseL31bsrmm_large_blockdim_kernel_extILj8ELj8ELj2Eii21rocsparse_complex_numIfES2_S2_S2_EEvb20rocsparse_direction_T3_S4_llNS_24const_host_device_scalarIT7_EEPKT2_PKS4_PKT4_S4_PKT5_llS7_PT6_ll16rocsparse_order_21rocsparse_index_base_b.has_dyn_sized_stack, 0
	.set _ZN9rocsparseL31bsrmm_large_blockdim_kernel_extILj8ELj8ELj2Eii21rocsparse_complex_numIfES2_S2_S2_EEvb20rocsparse_direction_T3_S4_llNS_24const_host_device_scalarIT7_EEPKT2_PKS4_PKT4_S4_PKT5_llS7_PT6_ll16rocsparse_order_21rocsparse_index_base_b.has_recursion, 0
	.set _ZN9rocsparseL31bsrmm_large_blockdim_kernel_extILj8ELj8ELj2Eii21rocsparse_complex_numIfES2_S2_S2_EEvb20rocsparse_direction_T3_S4_llNS_24const_host_device_scalarIT7_EEPKT2_PKS4_PKT4_S4_PKT5_llS7_PT6_ll16rocsparse_order_21rocsparse_index_base_b.has_indirect_call, 0
	.section	.AMDGPU.csdata,"",@progbits
; Kernel info:
; codeLenInByte = 1972
; TotalNumSgprs: 44
; NumVgprs: 32
; NumAgprs: 0
; TotalNumVgprs: 32
; ScratchSize: 0
; MemoryBound: 0
; FloatMode: 240
; IeeeMode: 1
; LDSByteSize: 1536 bytes/workgroup (compile time only)
; SGPRBlocks: 5
; VGPRBlocks: 3
; NumSGPRsForWavesPerEU: 44
; NumVGPRsForWavesPerEU: 32
; AccumOffset: 32
; Occupancy: 8
; WaveLimiterHint : 1
; COMPUTE_PGM_RSRC2:SCRATCH_EN: 0
; COMPUTE_PGM_RSRC2:USER_SGPR: 2
; COMPUTE_PGM_RSRC2:TRAP_HANDLER: 0
; COMPUTE_PGM_RSRC2:TGID_X_EN: 1
; COMPUTE_PGM_RSRC2:TGID_Y_EN: 1
; COMPUTE_PGM_RSRC2:TGID_Z_EN: 0
; COMPUTE_PGM_RSRC2:TIDIG_COMP_CNT: 1
; COMPUTE_PGM_RSRC3_GFX90A:ACCUM_OFFSET: 7
; COMPUTE_PGM_RSRC3_GFX90A:TG_SPLIT: 0
	.section	.text._ZN9rocsparseL31bsrmm_large_blockdim_kernel_extILj4ELj16ELj2Eii21rocsparse_complex_numIfES2_S2_S2_EEvb20rocsparse_direction_T3_S4_llNS_24const_host_device_scalarIT7_EEPKT2_PKS4_PKT4_S4_PKT5_llS7_PT6_ll16rocsparse_order_21rocsparse_index_base_b,"axG",@progbits,_ZN9rocsparseL31bsrmm_large_blockdim_kernel_extILj4ELj16ELj2Eii21rocsparse_complex_numIfES2_S2_S2_EEvb20rocsparse_direction_T3_S4_llNS_24const_host_device_scalarIT7_EEPKT2_PKS4_PKT4_S4_PKT5_llS7_PT6_ll16rocsparse_order_21rocsparse_index_base_b,comdat
	.globl	_ZN9rocsparseL31bsrmm_large_blockdim_kernel_extILj4ELj16ELj2Eii21rocsparse_complex_numIfES2_S2_S2_EEvb20rocsparse_direction_T3_S4_llNS_24const_host_device_scalarIT7_EEPKT2_PKS4_PKT4_S4_PKT5_llS7_PT6_ll16rocsparse_order_21rocsparse_index_base_b ; -- Begin function _ZN9rocsparseL31bsrmm_large_blockdim_kernel_extILj4ELj16ELj2Eii21rocsparse_complex_numIfES2_S2_S2_EEvb20rocsparse_direction_T3_S4_llNS_24const_host_device_scalarIT7_EEPKT2_PKS4_PKT4_S4_PKT5_llS7_PT6_ll16rocsparse_order_21rocsparse_index_base_b
	.p2align	8
	.type	_ZN9rocsparseL31bsrmm_large_blockdim_kernel_extILj4ELj16ELj2Eii21rocsparse_complex_numIfES2_S2_S2_EEvb20rocsparse_direction_T3_S4_llNS_24const_host_device_scalarIT7_EEPKT2_PKS4_PKT4_S4_PKT5_llS7_PT6_ll16rocsparse_order_21rocsparse_index_base_b,@function
_ZN9rocsparseL31bsrmm_large_blockdim_kernel_extILj4ELj16ELj2Eii21rocsparse_complex_numIfES2_S2_S2_EEvb20rocsparse_direction_T3_S4_llNS_24const_host_device_scalarIT7_EEPKT2_PKS4_PKT4_S4_PKT5_llS7_PT6_ll16rocsparse_order_21rocsparse_index_base_b: ; @_ZN9rocsparseL31bsrmm_large_blockdim_kernel_extILj4ELj16ELj2Eii21rocsparse_complex_numIfES2_S2_S2_EEvb20rocsparse_direction_T3_S4_llNS_24const_host_device_scalarIT7_EEPKT2_PKS4_PKT4_S4_PKT5_llS7_PT6_ll16rocsparse_order_21rocsparse_index_base_b
; %bb.0:
	s_load_dwordx2 s[4:5], s[0:1], 0x20
	s_load_dwordx4 s[16:19], s[0:1], 0x80
	s_mov_b32 s6, s3
	s_add_u32 s3, s0, 32
	s_addc_u32 s7, s1, 0
	s_load_dwordx2 s[8:9], s[0:1], 0x60
	s_add_u32 s10, s0, 0x60
	s_addc_u32 s11, s1, 0
	s_waitcnt lgkmcnt(0)
	s_bitcmp1_b32 s18, 0
	s_cselect_b32 s3, s3, s4
	s_cselect_b32 s5, s7, s5
	v_mov_b32_e32 v2, s3
	s_cselect_b32 s3, s11, s9
	s_cselect_b32 s4, s10, s8
	v_mov_b32_e32 v3, s5
	v_mov_b32_e32 v4, s4
	;; [unrolled: 1-line block ×3, first 2 shown]
	flat_load_dwordx2 v[2:3], v[2:3]
	s_mov_b32 s28, 0
	flat_load_dwordx2 v[4:5], v[4:5]
	s_waitcnt vmcnt(0) lgkmcnt(0)
	v_cmp_eq_f32_e32 vcc, 0, v2
	v_cmp_eq_f32_e64 s[8:9], 0, v3
	v_cmp_eq_f32_e64 s[10:11], 1.0, v4
	v_cmp_eq_f32_e64 s[4:5], 0, v5
	s_and_b64 s[8:9], vcc, s[8:9]
	s_and_b64 s[10:11], s[10:11], s[4:5]
	s_and_b64 s[8:9], s[8:9], s[10:11]
	s_xor_b64 s[8:9], s[8:9], -1
	s_and_saveexec_b64 s[10:11], s[8:9]
	s_cbranch_execz .LBB25_47
; %bb.1:
	s_load_dwordx4 s[12:15], s[0:1], 0x0
	s_load_dwordx2 s[8:9], s[0:1], 0x28
	s_waitcnt lgkmcnt(0)
	s_cmp_lt_i32 s2, s14
	s_cselect_b64 s[18:19], -1, 0
	s_cmp_ge_i32 s2, s14
	s_cbranch_scc1 .LBB25_3
; %bb.2:
	s_ashr_i32 s3, s2, 31
	s_lshl_b64 s[10:11], s[2:3], 2
	s_add_u32 s10, s8, s10
	s_addc_u32 s11, s9, s11
	s_load_dword s3, s[10:11], 0x0
	s_waitcnt lgkmcnt(0)
	s_sub_i32 s28, s3, s17
.LBB25_3:
	s_andn2_b64 vcc, exec, s[18:19]
	s_mov_b32 s14, 0
	s_cbranch_vccnz .LBB25_5
; %bb.4:
	s_ashr_i32 s3, s2, 31
	s_lshl_b64 s[10:11], s[2:3], 2
	s_add_u32 s8, s8, s10
	s_addc_u32 s9, s9, s11
	s_load_dword s3, s[8:9], 0x4
	s_waitcnt lgkmcnt(0)
	s_sub_i32 s14, s3, s17
.LBB25_5:
	s_load_dwordx2 s[30:31], s[0:1], 0x68
	s_load_dword s3, s[0:1], 0x40
	v_bfe_u32 v10, v0, 10, 10
	v_lshl_add_u32 v8, s6, 5, v10
	v_add_u32_e32 v6, 16, v8
	v_and_b32_e32 v12, 0x3ff, v0
	s_waitcnt lgkmcnt(0)
	v_cmp_gt_i32_e32 vcc, s3, v12
	s_cmp_ge_i32 s28, s14
	v_cmp_gt_i32_e64 s[6:7], s15, v8
	v_cmp_gt_i32_e64 s[8:9], s15, v6
	s_cbranch_scc1 .LBB25_23
; %bb.6:
	s_load_dwordx4 s[20:23], s[0:1], 0x30
	s_load_dwordx4 s[24:27], s[0:1], 0x48
	v_cmp_gt_i32_e64 s[10:11], s3, v10
	s_and_b64 s[34:35], vcc, s[10:11]
	s_bitcmp1_b32 s12, 0
	v_mov_b32_e32 v0, 0x400
	v_lshlrev_b32_e32 v13, 5, v10
	s_cselect_b64 s[10:11], -1, 0
	v_lshl_add_u32 v18, v10, 3, v0
	s_cmp_eq_u32 s13, 0
	v_mad_u64_u32 v[0:1], s[12:13], s3, v10, v[12:13]
	v_mad_u64_u32 v[10:11], s[12:13], s3, v12, v[10:11]
	v_ashrrev_i32_e32 v9, 31, v8
	s_waitcnt lgkmcnt(0)
	v_mul_lo_u32 v7, s27, v8
	v_mul_lo_u32 v11, s26, v9
	v_mad_u64_u32 v[14:15], s[12:13], s26, v8, 0
	v_mad_u64_u32 v[16:17], s[12:13], s26, v6, 0
	v_add3_u32 v15, v15, v11, v7
	v_ashrrev_i32_e32 v7, 31, v6
	s_cselect_b64 s[12:13], -1, 0
	v_mul_lo_u32 v11, s27, v6
	v_mul_lo_u32 v20, s26, v7
	v_cndmask_b32_e64 v22, v0, v10, s[12:13]
	v_mov_b32_e32 v10, 0
	v_lshlrev_b32_e32 v19, 3, v12
	v_lshlrev_b32_e32 v1, 5, v12
	v_add3_u32 v17, v17, v20, v11
	v_mov_b32_e32 v11, v10
	s_mul_i32 s33, s3, s3
	v_add_u32_e32 v23, 0x400, v1
	v_add_u32_e32 v24, 0x200, v13
	;; [unrolled: 1-line block ×4, first 2 shown]
	v_mov_b64_e32 v[0:1], v[10:11]
	s_branch .LBB25_9
.LBB25_7:                               ;   in Loop: Header=BB25_9 Depth=1
	s_or_b64 exec, exec, s[36:37]
.LBB25_8:                               ;   in Loop: Header=BB25_9 Depth=1
	s_or_b64 exec, exec, s[12:13]
	s_add_i32 s28, s28, 1
	s_cmp_ge_i32 s28, s14
	; wave barrier
	s_cbranch_scc1 .LBB25_24
.LBB25_9:                               ; =>This Loop Header: Depth=1
                                        ;     Child Loop BB25_19 Depth 2
                                        ;     Child Loop BB25_22 Depth 2
	s_and_saveexec_b64 s[12:13], vcc
	s_cbranch_execz .LBB25_14
; %bb.10:                               ;   in Loop: Header=BB25_9 Depth=1
	s_ashr_i32 s29, s28, 31
	s_lshl_b64 s[36:37], s[28:29], 2
	s_add_u32 s36, s20, s36
	s_addc_u32 s37, s21, s37
	s_load_dword s29, s[36:37], 0x0
	s_waitcnt lgkmcnt(0)
	s_sub_i32 s29, s29, s17
	s_mul_i32 s29, s29, s3
	v_add_u32_e32 v20, s29, v12
	v_ashrrev_i32_e32 v21, 31, v20
	v_mul_lo_u32 v27, s27, v20
	v_mad_u64_u32 v[18:19], s[36:37], s26, v20, 0
	v_mul_lo_u32 v28, s26, v21
	v_add3_u32 v19, v19, v28, v27
	v_lshl_add_u64 v[18:19], v[18:19], 3, s[24:25]
	v_lshl_add_u64 v[20:21], v[20:21], 3, s[24:25]
	s_and_saveexec_b64 s[36:37], s[6:7]
	s_cbranch_execz .LBB25_12
; %bb.11:                               ;   in Loop: Header=BB25_9 Depth=1
	v_lshl_add_u64 v[28:29], v[8:9], 3, v[18:19]
	v_lshl_add_u64 v[30:31], v[14:15], 3, v[20:21]
	v_cndmask_b32_e64 v29, v29, v31, s[10:11]
	v_cndmask_b32_e64 v28, v28, v30, s[10:11]
	global_load_dwordx2 v[28:29], v[28:29], off
	s_waitcnt vmcnt(0)
	ds_write_b64 v25, v[28:29]
.LBB25_12:                              ;   in Loop: Header=BB25_9 Depth=1
	s_or_b64 exec, exec, s[36:37]
	s_and_b64 exec, exec, s[8:9]
	s_cbranch_execz .LBB25_14
; %bb.13:                               ;   in Loop: Header=BB25_9 Depth=1
	v_lshl_add_u64 v[20:21], v[16:17], 3, v[20:21]
	v_lshl_add_u64 v[18:19], v[6:7], 3, v[18:19]
	v_cndmask_b32_e64 v19, v19, v21, s[10:11]
	v_cndmask_b32_e64 v18, v18, v20, s[10:11]
	global_load_dwordx2 v[18:19], v[18:19], off
	s_waitcnt vmcnt(0)
	ds_write_b64 v25, v[18:19] offset:512
.LBB25_14:                              ;   in Loop: Header=BB25_9 Depth=1
	s_or_b64 exec, exec, s[12:13]
	s_and_saveexec_b64 s[12:13], s[34:35]
	s_cbranch_execz .LBB25_16
; %bb.15:                               ;   in Loop: Header=BB25_9 Depth=1
	s_mul_i32 s29, s33, s28
	v_add_u32_e32 v18, s29, v22
	v_ashrrev_i32_e32 v19, 31, v18
	v_lshl_add_u64 v[18:19], v[18:19], 3, s[22:23]
	global_load_dwordx2 v[18:19], v[18:19], off
	s_waitcnt vmcnt(0)
	ds_write_b64 v26, v[18:19]
.LBB25_16:                              ;   in Loop: Header=BB25_9 Depth=1
	s_or_b64 exec, exec, s[12:13]
	s_waitcnt lgkmcnt(0)
	; wave barrier
	s_and_saveexec_b64 s[12:13], vcc
	s_cbranch_execz .LBB25_8
; %bb.17:                               ;   in Loop: Header=BB25_9 Depth=1
	s_and_saveexec_b64 s[36:37], s[6:7]
	s_cbranch_execz .LBB25_20
; %bb.18:                               ;   in Loop: Header=BB25_9 Depth=1
	v_mov_b32_e32 v18, v23
	v_mov_b32_e32 v19, v13
	s_mov_b32 s29, s3
.LBB25_19:                              ;   Parent Loop BB25_9 Depth=1
                                        ; =>  This Inner Loop Header: Depth=2
	ds_read_b64 v[20:21], v19
	ds_read_b64 v[28:29], v18
	s_add_i32 s29, s29, -1
	v_add_u32_e32 v19, 8, v19
	v_add_u32_e32 v18, 8, v18
	s_cmp_lg_u32 s29, 0
	s_waitcnt lgkmcnt(0)
	v_xor_b32_e32 v30, 0x80000000, v29
	v_pk_fma_f32 v[10:11], v[28:29], v[20:21], v[10:11] op_sel_hi:[1,0,1]
	v_mov_b32_e32 v31, v28
	v_pk_fma_f32 v[10:11], v[30:31], v[20:21], v[10:11] op_sel:[0,1,0]
	s_cbranch_scc1 .LBB25_19
.LBB25_20:                              ;   in Loop: Header=BB25_9 Depth=1
	s_or_b64 exec, exec, s[36:37]
	s_and_saveexec_b64 s[36:37], s[8:9]
	s_cbranch_execz .LBB25_7
; %bb.21:                               ;   in Loop: Header=BB25_9 Depth=1
	v_mov_b32_e32 v18, v23
	s_mov_b32 s29, s3
	v_mov_b32_e32 v19, v24
.LBB25_22:                              ;   Parent Loop BB25_9 Depth=1
                                        ; =>  This Inner Loop Header: Depth=2
	ds_read_b64 v[20:21], v19
	ds_read_b64 v[28:29], v18
	s_add_i32 s29, s29, -1
	v_add_u32_e32 v19, 8, v19
	v_add_u32_e32 v18, 8, v18
	s_cmp_lg_u32 s29, 0
	s_waitcnt lgkmcnt(0)
	v_xor_b32_e32 v30, 0x80000000, v29
	v_pk_fma_f32 v[0:1], v[28:29], v[20:21], v[0:1] op_sel_hi:[1,0,1]
	v_mov_b32_e32 v31, v28
	v_pk_fma_f32 v[0:1], v[30:31], v[20:21], v[0:1] op_sel:[0,1,0]
	s_cbranch_scc1 .LBB25_22
	s_branch .LBB25_7
.LBB25_23:
	v_mov_b32_e32 v0, 0
	v_mov_b32_e32 v1, v0
	v_mov_b64_e32 v[10:11], v[0:1]
.LBB25_24:
	s_and_b64 s[6:7], s[18:19], vcc
	s_and_b64 exec, exec, s[6:7]
	s_cbranch_execz .LBB25_47
; %bb.25:
	s_mul_i32 s2, s3, s2
	v_add_u32_e32 v12, s2, v12
	s_load_dwordx2 s[2:3], s[0:1], 0x70
	v_cmp_neq_f32_e32 vcc, 0, v4
	s_xor_b64 s[0:1], s[4:5], -1
	v_ashrrev_i32_e32 v13, 31, v12
	s_or_b64 s[4:5], vcc, s[0:1]
	s_waitcnt lgkmcnt(0)
	v_mul_lo_u32 v7, s2, v13
	v_mul_lo_u32 v9, s3, v12
	v_mad_u64_u32 v[14:15], s[6:7], s2, v12, 0
	s_cmp_lg_u32 s16, 1
	v_add3_u32 v15, v15, v7, v9
	s_cselect_b64 s[0:1], -1, 0
	v_lshl_add_u64 v[14:15], v[14:15], 3, s[30:31]
	v_lshl_add_u64 v[12:13], v[12:13], 3, s[30:31]
	v_cmp_gt_i32_e32 vcc, s15, v8
	s_and_saveexec_b64 s[6:7], vcc
	s_cbranch_execz .LBB25_36
; %bb.26:
	v_ashrrev_i32_e32 v9, 31, v8
	s_and_saveexec_b64 s[8:9], s[4:5]
	s_xor_b64 s[8:9], exec, s[8:9]
	s_cbranch_execz .LBB25_31
; %bb.27:
	s_mov_b64 s[10:11], -1
	s_and_b64 vcc, exec, s[0:1]
	s_cbranch_vccz .LBB25_29
; %bb.28:
	v_lshl_add_u64 v[16:17], v[8:9], 3, v[14:15]
	global_load_dwordx2 v[18:19], v[16:17], off
	v_xor_b32_e32 v20, 0x80000000, v3
	v_mov_b32_e32 v21, v2
	v_pk_mul_f32 v[20:21], v[10:11], v[20:21] op_sel:[1,0]
	v_xor_b32_e32 v22, 0x80000000, v5
	v_pk_fma_f32 v[20:21], v[2:3], v[10:11], v[20:21] op_sel_hi:[1,0,1]
	v_mov_b32_e32 v23, v4
	s_mov_b64 s[10:11], 0
	s_waitcnt vmcnt(0)
	v_pk_fma_f32 v[20:21], v[4:5], v[18:19], v[20:21] op_sel_hi:[1,0,1]
	s_nop 0
	v_pk_fma_f32 v[18:19], v[22:23], v[18:19], v[20:21] op_sel:[0,1,0]
	global_store_dwordx2 v[16:17], v[18:19], off
.LBB25_29:
	s_andn2_b64 vcc, exec, s[10:11]
	s_cbranch_vccnz .LBB25_31
; %bb.30:
	v_mul_lo_u32 v7, s3, v8
	v_mul_lo_u32 v16, s2, v9
	v_mad_u64_u32 v[8:9], s[10:11], s2, v8, 0
	v_add3_u32 v9, v9, v16, v7
	v_lshl_add_u64 v[8:9], v[8:9], 3, v[12:13]
	global_load_dwordx2 v[16:17], v[8:9], off
	v_xor_b32_e32 v18, 0x80000000, v3
	v_mov_b32_e32 v19, v2
	v_pk_mul_f32 v[18:19], v[10:11], v[18:19] op_sel:[1,0]
	v_xor_b32_e32 v20, 0x80000000, v5
	v_pk_fma_f32 v[10:11], v[2:3], v[10:11], v[18:19] op_sel_hi:[1,0,1]
	v_mov_b32_e32 v21, v4
	s_waitcnt vmcnt(0)
	v_pk_fma_f32 v[10:11], v[4:5], v[16:17], v[10:11] op_sel_hi:[1,0,1]
	s_nop 0
	v_pk_fma_f32 v[10:11], v[20:21], v[16:17], v[10:11] op_sel:[0,1,0]
	global_store_dwordx2 v[8:9], v[10:11], off
                                        ; implicit-def: $vgpr10_vgpr11
                                        ; implicit-def: $vgpr8
.LBB25_31:
	s_andn2_saveexec_b64 s[8:9], s[8:9]
	s_cbranch_execz .LBB25_36
; %bb.32:
	v_xor_b32_e32 v16, 0x80000000, v3
	v_mov_b32_e32 v17, v2
	v_pk_mul_f32 v[16:17], v[10:11], v[16:17] op_sel:[1,0]
	s_mov_b64 s[8:9], -1
	v_pk_fma_f32 v[10:11], v[2:3], v[10:11], v[16:17] op_sel_hi:[1,0,1]
	s_and_b64 vcc, exec, s[0:1]
	s_cbranch_vccz .LBB25_34
; %bb.33:
	v_lshl_add_u64 v[16:17], v[8:9], 3, v[14:15]
	global_store_dwordx2 v[16:17], v[10:11], off
	s_mov_b64 s[8:9], 0
.LBB25_34:
	s_andn2_b64 vcc, exec, s[8:9]
	s_cbranch_vccnz .LBB25_36
; %bb.35:
	v_mul_lo_u32 v7, s3, v8
	v_mul_lo_u32 v16, s2, v9
	v_mad_u64_u32 v[8:9], s[8:9], s2, v8, 0
	v_add3_u32 v9, v9, v16, v7
	v_lshl_add_u64 v[8:9], v[8:9], 3, v[12:13]
	global_store_dwordx2 v[8:9], v[10:11], off
.LBB25_36:
	s_or_b64 exec, exec, s[6:7]
	v_cmp_gt_i32_e32 vcc, s15, v6
	s_and_b64 exec, exec, vcc
	s_cbranch_execz .LBB25_47
; %bb.37:
	v_cndmask_b32_e64 v8, 0, 1, s[0:1]
	v_ashrrev_i32_e32 v7, 31, v6
	v_cmp_ne_u32_e64 s[0:1], 1, v8
	s_and_saveexec_b64 s[6:7], s[4:5]
	s_xor_b64 s[4:5], exec, s[6:7]
	s_cbranch_execz .LBB25_42
; %bb.38:
	s_and_b64 vcc, exec, s[0:1]
	s_mov_b64 s[6:7], -1
	s_cbranch_vccnz .LBB25_40
; %bb.39:
	v_lshl_add_u64 v[8:9], v[6:7], 3, v[14:15]
	global_load_dwordx2 v[10:11], v[8:9], off
	v_xor_b32_e32 v14, 0x80000000, v3
	v_mov_b32_e32 v15, v2
	v_pk_mul_f32 v[14:15], v[0:1], v[14:15] op_sel:[1,0]
	v_xor_b32_e32 v16, 0x80000000, v5
	v_pk_fma_f32 v[14:15], v[2:3], v[0:1], v[14:15] op_sel_hi:[1,0,1]
	v_mov_b32_e32 v17, v4
	s_mov_b64 s[6:7], 0
	s_waitcnt vmcnt(0)
	v_pk_fma_f32 v[14:15], v[4:5], v[10:11], v[14:15] op_sel_hi:[1,0,1]
	s_nop 0
	v_pk_fma_f32 v[10:11], v[16:17], v[10:11], v[14:15] op_sel:[0,1,0]
	global_store_dwordx2 v[8:9], v[10:11], off
.LBB25_40:
	s_andn2_b64 vcc, exec, s[6:7]
                                        ; implicit-def: $vgpr14_vgpr15
	s_cbranch_vccnz .LBB25_42
; %bb.41:
	v_mul_lo_u32 v8, s3, v6
	v_mul_lo_u32 v9, s2, v7
	v_mad_u64_u32 v[6:7], s[6:7], s2, v6, 0
	v_add3_u32 v7, v7, v9, v8
	v_lshl_add_u64 v[6:7], v[6:7], 3, v[12:13]
	global_load_dwordx2 v[8:9], v[6:7], off
	v_xor_b32_e32 v10, 0x80000000, v3
	v_mov_b32_e32 v11, v2
	v_pk_mul_f32 v[10:11], v[0:1], v[10:11] op_sel:[1,0]
	v_xor_b32_e32 v12, 0x80000000, v5
	v_pk_fma_f32 v[0:1], v[2:3], v[0:1], v[10:11] op_sel_hi:[1,0,1]
	v_mov_b32_e32 v13, v4
                                        ; implicit-def: $vgpr2_vgpr3
                                        ; implicit-def: $vgpr14_vgpr15
	s_waitcnt vmcnt(0)
	v_pk_fma_f32 v[0:1], v[4:5], v[8:9], v[0:1] op_sel_hi:[1,0,1]
	s_nop 0
	v_pk_fma_f32 v[0:1], v[12:13], v[8:9], v[0:1] op_sel:[0,1,0]
	global_store_dwordx2 v[6:7], v[0:1], off
                                        ; implicit-def: $vgpr12_vgpr13
                                        ; implicit-def: $vgpr0_vgpr1
                                        ; implicit-def: $vgpr6
.LBB25_42:
	s_andn2_saveexec_b64 s[4:5], s[4:5]
	s_cbranch_execz .LBB25_47
; %bb.43:
	v_xor_b32_e32 v4, 0x80000000, v3
	v_mov_b32_e32 v5, v2
	v_pk_mul_f32 v[4:5], v[0:1], v[4:5] op_sel:[1,0]
	s_and_b64 vcc, exec, s[0:1]
	v_pk_fma_f32 v[0:1], v[2:3], v[0:1], v[4:5] op_sel_hi:[1,0,1]
	s_mov_b64 s[0:1], -1
	s_cbranch_vccnz .LBB25_45
; %bb.44:
	v_lshl_add_u64 v[2:3], v[6:7], 3, v[14:15]
	s_mov_b64 s[0:1], 0
	global_store_dwordx2 v[2:3], v[0:1], off
.LBB25_45:
	s_andn2_b64 vcc, exec, s[0:1]
	s_cbranch_vccnz .LBB25_47
; %bb.46:
	v_mul_lo_u32 v4, s3, v6
	v_mul_lo_u32 v5, s2, v7
	v_mad_u64_u32 v[2:3], s[0:1], s2, v6, 0
	v_add3_u32 v3, v3, v5, v4
	v_lshl_add_u64 v[2:3], v[2:3], 3, v[12:13]
	global_store_dwordx2 v[2:3], v[0:1], off
.LBB25_47:
	s_endpgm
	.section	.rodata,"a",@progbits
	.p2align	6, 0x0
	.amdhsa_kernel _ZN9rocsparseL31bsrmm_large_blockdim_kernel_extILj4ELj16ELj2Eii21rocsparse_complex_numIfES2_S2_S2_EEvb20rocsparse_direction_T3_S4_llNS_24const_host_device_scalarIT7_EEPKT2_PKS4_PKT4_S4_PKT5_llS7_PT6_ll16rocsparse_order_21rocsparse_index_base_b
		.amdhsa_group_segment_fixed_size 1152
		.amdhsa_private_segment_fixed_size 0
		.amdhsa_kernarg_size 140
		.amdhsa_user_sgpr_count 2
		.amdhsa_user_sgpr_dispatch_ptr 0
		.amdhsa_user_sgpr_queue_ptr 0
		.amdhsa_user_sgpr_kernarg_segment_ptr 1
		.amdhsa_user_sgpr_dispatch_id 0
		.amdhsa_user_sgpr_kernarg_preload_length 0
		.amdhsa_user_sgpr_kernarg_preload_offset 0
		.amdhsa_user_sgpr_private_segment_size 0
		.amdhsa_uses_dynamic_stack 0
		.amdhsa_enable_private_segment 0
		.amdhsa_system_sgpr_workgroup_id_x 1
		.amdhsa_system_sgpr_workgroup_id_y 1
		.amdhsa_system_sgpr_workgroup_id_z 0
		.amdhsa_system_sgpr_workgroup_info 0
		.amdhsa_system_vgpr_workitem_id 1
		.amdhsa_next_free_vgpr 32
		.amdhsa_next_free_sgpr 38
		.amdhsa_accum_offset 32
		.amdhsa_reserve_vcc 1
		.amdhsa_float_round_mode_32 0
		.amdhsa_float_round_mode_16_64 0
		.amdhsa_float_denorm_mode_32 3
		.amdhsa_float_denorm_mode_16_64 3
		.amdhsa_dx10_clamp 1
		.amdhsa_ieee_mode 1
		.amdhsa_fp16_overflow 0
		.amdhsa_tg_split 0
		.amdhsa_exception_fp_ieee_invalid_op 0
		.amdhsa_exception_fp_denorm_src 0
		.amdhsa_exception_fp_ieee_div_zero 0
		.amdhsa_exception_fp_ieee_overflow 0
		.amdhsa_exception_fp_ieee_underflow 0
		.amdhsa_exception_fp_ieee_inexact 0
		.amdhsa_exception_int_div_zero 0
	.end_amdhsa_kernel
	.section	.text._ZN9rocsparseL31bsrmm_large_blockdim_kernel_extILj4ELj16ELj2Eii21rocsparse_complex_numIfES2_S2_S2_EEvb20rocsparse_direction_T3_S4_llNS_24const_host_device_scalarIT7_EEPKT2_PKS4_PKT4_S4_PKT5_llS7_PT6_ll16rocsparse_order_21rocsparse_index_base_b,"axG",@progbits,_ZN9rocsparseL31bsrmm_large_blockdim_kernel_extILj4ELj16ELj2Eii21rocsparse_complex_numIfES2_S2_S2_EEvb20rocsparse_direction_T3_S4_llNS_24const_host_device_scalarIT7_EEPKT2_PKS4_PKT4_S4_PKT5_llS7_PT6_ll16rocsparse_order_21rocsparse_index_base_b,comdat
.Lfunc_end25:
	.size	_ZN9rocsparseL31bsrmm_large_blockdim_kernel_extILj4ELj16ELj2Eii21rocsparse_complex_numIfES2_S2_S2_EEvb20rocsparse_direction_T3_S4_llNS_24const_host_device_scalarIT7_EEPKT2_PKS4_PKT4_S4_PKT5_llS7_PT6_ll16rocsparse_order_21rocsparse_index_base_b, .Lfunc_end25-_ZN9rocsparseL31bsrmm_large_blockdim_kernel_extILj4ELj16ELj2Eii21rocsparse_complex_numIfES2_S2_S2_EEvb20rocsparse_direction_T3_S4_llNS_24const_host_device_scalarIT7_EEPKT2_PKS4_PKT4_S4_PKT5_llS7_PT6_ll16rocsparse_order_21rocsparse_index_base_b
                                        ; -- End function
	.set _ZN9rocsparseL31bsrmm_large_blockdim_kernel_extILj4ELj16ELj2Eii21rocsparse_complex_numIfES2_S2_S2_EEvb20rocsparse_direction_T3_S4_llNS_24const_host_device_scalarIT7_EEPKT2_PKS4_PKT4_S4_PKT5_llS7_PT6_ll16rocsparse_order_21rocsparse_index_base_b.num_vgpr, 32
	.set _ZN9rocsparseL31bsrmm_large_blockdim_kernel_extILj4ELj16ELj2Eii21rocsparse_complex_numIfES2_S2_S2_EEvb20rocsparse_direction_T3_S4_llNS_24const_host_device_scalarIT7_EEPKT2_PKS4_PKT4_S4_PKT5_llS7_PT6_ll16rocsparse_order_21rocsparse_index_base_b.num_agpr, 0
	.set _ZN9rocsparseL31bsrmm_large_blockdim_kernel_extILj4ELj16ELj2Eii21rocsparse_complex_numIfES2_S2_S2_EEvb20rocsparse_direction_T3_S4_llNS_24const_host_device_scalarIT7_EEPKT2_PKS4_PKT4_S4_PKT5_llS7_PT6_ll16rocsparse_order_21rocsparse_index_base_b.numbered_sgpr, 38
	.set _ZN9rocsparseL31bsrmm_large_blockdim_kernel_extILj4ELj16ELj2Eii21rocsparse_complex_numIfES2_S2_S2_EEvb20rocsparse_direction_T3_S4_llNS_24const_host_device_scalarIT7_EEPKT2_PKS4_PKT4_S4_PKT5_llS7_PT6_ll16rocsparse_order_21rocsparse_index_base_b.num_named_barrier, 0
	.set _ZN9rocsparseL31bsrmm_large_blockdim_kernel_extILj4ELj16ELj2Eii21rocsparse_complex_numIfES2_S2_S2_EEvb20rocsparse_direction_T3_S4_llNS_24const_host_device_scalarIT7_EEPKT2_PKS4_PKT4_S4_PKT5_llS7_PT6_ll16rocsparse_order_21rocsparse_index_base_b.private_seg_size, 0
	.set _ZN9rocsparseL31bsrmm_large_blockdim_kernel_extILj4ELj16ELj2Eii21rocsparse_complex_numIfES2_S2_S2_EEvb20rocsparse_direction_T3_S4_llNS_24const_host_device_scalarIT7_EEPKT2_PKS4_PKT4_S4_PKT5_llS7_PT6_ll16rocsparse_order_21rocsparse_index_base_b.uses_vcc, 1
	.set _ZN9rocsparseL31bsrmm_large_blockdim_kernel_extILj4ELj16ELj2Eii21rocsparse_complex_numIfES2_S2_S2_EEvb20rocsparse_direction_T3_S4_llNS_24const_host_device_scalarIT7_EEPKT2_PKS4_PKT4_S4_PKT5_llS7_PT6_ll16rocsparse_order_21rocsparse_index_base_b.uses_flat_scratch, 0
	.set _ZN9rocsparseL31bsrmm_large_blockdim_kernel_extILj4ELj16ELj2Eii21rocsparse_complex_numIfES2_S2_S2_EEvb20rocsparse_direction_T3_S4_llNS_24const_host_device_scalarIT7_EEPKT2_PKS4_PKT4_S4_PKT5_llS7_PT6_ll16rocsparse_order_21rocsparse_index_base_b.has_dyn_sized_stack, 0
	.set _ZN9rocsparseL31bsrmm_large_blockdim_kernel_extILj4ELj16ELj2Eii21rocsparse_complex_numIfES2_S2_S2_EEvb20rocsparse_direction_T3_S4_llNS_24const_host_device_scalarIT7_EEPKT2_PKS4_PKT4_S4_PKT5_llS7_PT6_ll16rocsparse_order_21rocsparse_index_base_b.has_recursion, 0
	.set _ZN9rocsparseL31bsrmm_large_blockdim_kernel_extILj4ELj16ELj2Eii21rocsparse_complex_numIfES2_S2_S2_EEvb20rocsparse_direction_T3_S4_llNS_24const_host_device_scalarIT7_EEPKT2_PKS4_PKT4_S4_PKT5_llS7_PT6_ll16rocsparse_order_21rocsparse_index_base_b.has_indirect_call, 0
	.section	.AMDGPU.csdata,"",@progbits
; Kernel info:
; codeLenInByte = 1972
; TotalNumSgprs: 44
; NumVgprs: 32
; NumAgprs: 0
; TotalNumVgprs: 32
; ScratchSize: 0
; MemoryBound: 0
; FloatMode: 240
; IeeeMode: 1
; LDSByteSize: 1152 bytes/workgroup (compile time only)
; SGPRBlocks: 5
; VGPRBlocks: 3
; NumSGPRsForWavesPerEU: 44
; NumVGPRsForWavesPerEU: 32
; AccumOffset: 32
; Occupancy: 8
; WaveLimiterHint : 1
; COMPUTE_PGM_RSRC2:SCRATCH_EN: 0
; COMPUTE_PGM_RSRC2:USER_SGPR: 2
; COMPUTE_PGM_RSRC2:TRAP_HANDLER: 0
; COMPUTE_PGM_RSRC2:TGID_X_EN: 1
; COMPUTE_PGM_RSRC2:TGID_Y_EN: 1
; COMPUTE_PGM_RSRC2:TGID_Z_EN: 0
; COMPUTE_PGM_RSRC2:TIDIG_COMP_CNT: 1
; COMPUTE_PGM_RSRC3_GFX90A:ACCUM_OFFSET: 7
; COMPUTE_PGM_RSRC3_GFX90A:TG_SPLIT: 0
	.section	.text._ZN9rocsparseL31bsrmm_large_blockdim_kernel_extILj16ELj16ELj2Eii21rocsparse_complex_numIfES2_S2_S2_EEvb20rocsparse_direction_T3_S4_llNS_24const_host_device_scalarIT7_EEPKT2_PKS4_PKT4_S4_PKT5_llS7_PT6_ll16rocsparse_order_21rocsparse_index_base_b,"axG",@progbits,_ZN9rocsparseL31bsrmm_large_blockdim_kernel_extILj16ELj16ELj2Eii21rocsparse_complex_numIfES2_S2_S2_EEvb20rocsparse_direction_T3_S4_llNS_24const_host_device_scalarIT7_EEPKT2_PKS4_PKT4_S4_PKT5_llS7_PT6_ll16rocsparse_order_21rocsparse_index_base_b,comdat
	.globl	_ZN9rocsparseL31bsrmm_large_blockdim_kernel_extILj16ELj16ELj2Eii21rocsparse_complex_numIfES2_S2_S2_EEvb20rocsparse_direction_T3_S4_llNS_24const_host_device_scalarIT7_EEPKT2_PKS4_PKT4_S4_PKT5_llS7_PT6_ll16rocsparse_order_21rocsparse_index_base_b ; -- Begin function _ZN9rocsparseL31bsrmm_large_blockdim_kernel_extILj16ELj16ELj2Eii21rocsparse_complex_numIfES2_S2_S2_EEvb20rocsparse_direction_T3_S4_llNS_24const_host_device_scalarIT7_EEPKT2_PKS4_PKT4_S4_PKT5_llS7_PT6_ll16rocsparse_order_21rocsparse_index_base_b
	.p2align	8
	.type	_ZN9rocsparseL31bsrmm_large_blockdim_kernel_extILj16ELj16ELj2Eii21rocsparse_complex_numIfES2_S2_S2_EEvb20rocsparse_direction_T3_S4_llNS_24const_host_device_scalarIT7_EEPKT2_PKS4_PKT4_S4_PKT5_llS7_PT6_ll16rocsparse_order_21rocsparse_index_base_b,@function
_ZN9rocsparseL31bsrmm_large_blockdim_kernel_extILj16ELj16ELj2Eii21rocsparse_complex_numIfES2_S2_S2_EEvb20rocsparse_direction_T3_S4_llNS_24const_host_device_scalarIT7_EEPKT2_PKS4_PKT4_S4_PKT5_llS7_PT6_ll16rocsparse_order_21rocsparse_index_base_b: ; @_ZN9rocsparseL31bsrmm_large_blockdim_kernel_extILj16ELj16ELj2Eii21rocsparse_complex_numIfES2_S2_S2_EEvb20rocsparse_direction_T3_S4_llNS_24const_host_device_scalarIT7_EEPKT2_PKS4_PKT4_S4_PKT5_llS7_PT6_ll16rocsparse_order_21rocsparse_index_base_b
; %bb.0:
	s_load_dwordx2 s[4:5], s[0:1], 0x20
	s_load_dwordx4 s[16:19], s[0:1], 0x80
	s_mov_b32 s6, s3
	s_add_u32 s3, s0, 32
	s_addc_u32 s7, s1, 0
	s_load_dwordx2 s[8:9], s[0:1], 0x60
	s_add_u32 s10, s0, 0x60
	s_addc_u32 s11, s1, 0
	s_waitcnt lgkmcnt(0)
	s_bitcmp1_b32 s18, 0
	s_cselect_b32 s3, s3, s4
	s_cselect_b32 s5, s7, s5
	v_mov_b32_e32 v2, s3
	s_cselect_b32 s3, s11, s9
	s_cselect_b32 s4, s10, s8
	v_mov_b32_e32 v3, s5
	v_mov_b32_e32 v4, s4
	;; [unrolled: 1-line block ×3, first 2 shown]
	flat_load_dwordx2 v[2:3], v[2:3]
	s_mov_b32 s28, 0
	flat_load_dwordx2 v[4:5], v[4:5]
	s_waitcnt vmcnt(0) lgkmcnt(0)
	v_cmp_eq_f32_e32 vcc, 0, v2
	v_cmp_eq_f32_e64 s[8:9], 0, v3
	v_cmp_eq_f32_e64 s[10:11], 1.0, v4
	v_cmp_eq_f32_e64 s[4:5], 0, v5
	s_and_b64 s[8:9], vcc, s[8:9]
	s_and_b64 s[10:11], s[10:11], s[4:5]
	s_and_b64 s[8:9], s[8:9], s[10:11]
	s_xor_b64 s[8:9], s[8:9], -1
	s_and_saveexec_b64 s[10:11], s[8:9]
	s_cbranch_execz .LBB26_47
; %bb.1:
	s_load_dwordx4 s[12:15], s[0:1], 0x0
	s_load_dwordx2 s[8:9], s[0:1], 0x28
	s_waitcnt lgkmcnt(0)
	s_cmp_lt_i32 s2, s14
	s_cselect_b64 s[18:19], -1, 0
	s_cmp_ge_i32 s2, s14
	s_cbranch_scc1 .LBB26_3
; %bb.2:
	s_ashr_i32 s3, s2, 31
	s_lshl_b64 s[10:11], s[2:3], 2
	s_add_u32 s10, s8, s10
	s_addc_u32 s11, s9, s11
	s_load_dword s3, s[10:11], 0x0
	s_waitcnt lgkmcnt(0)
	s_sub_i32 s28, s3, s17
.LBB26_3:
	s_andn2_b64 vcc, exec, s[18:19]
	s_mov_b32 s14, 0
	s_cbranch_vccnz .LBB26_5
; %bb.4:
	s_ashr_i32 s3, s2, 31
	s_lshl_b64 s[10:11], s[2:3], 2
	s_add_u32 s8, s8, s10
	s_addc_u32 s9, s9, s11
	s_load_dword s3, s[8:9], 0x4
	s_waitcnt lgkmcnt(0)
	s_sub_i32 s14, s3, s17
.LBB26_5:
	s_load_dwordx2 s[30:31], s[0:1], 0x68
	s_load_dword s3, s[0:1], 0x40
	v_bfe_u32 v10, v0, 10, 10
	v_lshl_add_u32 v8, s6, 5, v10
	v_add_u32_e32 v6, 16, v8
	v_and_b32_e32 v12, 0x3ff, v0
	s_waitcnt lgkmcnt(0)
	v_cmp_gt_i32_e32 vcc, s3, v12
	s_cmp_ge_i32 s28, s14
	v_cmp_gt_i32_e64 s[6:7], s15, v8
	v_cmp_gt_i32_e64 s[8:9], s15, v6
	s_cbranch_scc1 .LBB26_23
; %bb.6:
	s_load_dwordx4 s[20:23], s[0:1], 0x30
	s_load_dwordx4 s[24:27], s[0:1], 0x48
	v_cmp_gt_i32_e64 s[10:11], s3, v10
	s_and_b64 s[34:35], vcc, s[10:11]
	s_bitcmp1_b32 s12, 0
	v_mov_b32_e32 v0, 0x1000
	v_lshlrev_b32_e32 v13, 7, v10
	s_cselect_b64 s[10:11], -1, 0
	v_lshl_add_u32 v18, v10, 3, v0
	s_cmp_eq_u32 s13, 0
	v_mad_u64_u32 v[0:1], s[12:13], s3, v10, v[12:13]
	v_mad_u64_u32 v[10:11], s[12:13], s3, v12, v[10:11]
	v_ashrrev_i32_e32 v9, 31, v8
	s_waitcnt lgkmcnt(0)
	v_mul_lo_u32 v7, s27, v8
	v_mul_lo_u32 v11, s26, v9
	v_mad_u64_u32 v[14:15], s[12:13], s26, v8, 0
	v_mad_u64_u32 v[16:17], s[12:13], s26, v6, 0
	v_add3_u32 v15, v15, v11, v7
	v_ashrrev_i32_e32 v7, 31, v6
	s_cselect_b64 s[12:13], -1, 0
	v_mul_lo_u32 v11, s27, v6
	v_mul_lo_u32 v20, s26, v7
	v_cndmask_b32_e64 v22, v0, v10, s[12:13]
	v_mov_b32_e32 v10, 0
	v_lshlrev_b32_e32 v19, 3, v12
	v_lshlrev_b32_e32 v1, 7, v12
	v_add3_u32 v17, v17, v20, v11
	v_mov_b32_e32 v11, v10
	s_mul_i32 s33, s3, s3
	v_add_u32_e32 v23, 0x1000, v1
	v_add_u32_e32 v24, 0x800, v13
	;; [unrolled: 1-line block ×4, first 2 shown]
	v_mov_b64_e32 v[0:1], v[10:11]
	s_branch .LBB26_9
.LBB26_7:                               ;   in Loop: Header=BB26_9 Depth=1
	s_or_b64 exec, exec, s[36:37]
.LBB26_8:                               ;   in Loop: Header=BB26_9 Depth=1
	s_or_b64 exec, exec, s[12:13]
	s_add_i32 s28, s28, 1
	s_cmp_ge_i32 s28, s14
	s_barrier
	s_cbranch_scc1 .LBB26_24
.LBB26_9:                               ; =>This Loop Header: Depth=1
                                        ;     Child Loop BB26_19 Depth 2
                                        ;     Child Loop BB26_22 Depth 2
	s_and_saveexec_b64 s[12:13], vcc
	s_cbranch_execz .LBB26_14
; %bb.10:                               ;   in Loop: Header=BB26_9 Depth=1
	s_ashr_i32 s29, s28, 31
	s_lshl_b64 s[36:37], s[28:29], 2
	s_add_u32 s36, s20, s36
	s_addc_u32 s37, s21, s37
	s_load_dword s29, s[36:37], 0x0
	s_waitcnt lgkmcnt(0)
	s_sub_i32 s29, s29, s17
	s_mul_i32 s29, s29, s3
	v_add_u32_e32 v20, s29, v12
	v_ashrrev_i32_e32 v21, 31, v20
	v_mul_lo_u32 v27, s27, v20
	v_mad_u64_u32 v[18:19], s[36:37], s26, v20, 0
	v_mul_lo_u32 v28, s26, v21
	v_add3_u32 v19, v19, v28, v27
	v_lshl_add_u64 v[18:19], v[18:19], 3, s[24:25]
	v_lshl_add_u64 v[20:21], v[20:21], 3, s[24:25]
	s_and_saveexec_b64 s[36:37], s[6:7]
	s_cbranch_execz .LBB26_12
; %bb.11:                               ;   in Loop: Header=BB26_9 Depth=1
	v_lshl_add_u64 v[28:29], v[8:9], 3, v[18:19]
	v_lshl_add_u64 v[30:31], v[14:15], 3, v[20:21]
	v_cndmask_b32_e64 v29, v29, v31, s[10:11]
	v_cndmask_b32_e64 v28, v28, v30, s[10:11]
	global_load_dwordx2 v[28:29], v[28:29], off
	s_waitcnt vmcnt(0)
	ds_write_b64 v25, v[28:29]
.LBB26_12:                              ;   in Loop: Header=BB26_9 Depth=1
	s_or_b64 exec, exec, s[36:37]
	s_and_b64 exec, exec, s[8:9]
	s_cbranch_execz .LBB26_14
; %bb.13:                               ;   in Loop: Header=BB26_9 Depth=1
	v_lshl_add_u64 v[20:21], v[16:17], 3, v[20:21]
	v_lshl_add_u64 v[18:19], v[6:7], 3, v[18:19]
	v_cndmask_b32_e64 v19, v19, v21, s[10:11]
	v_cndmask_b32_e64 v18, v18, v20, s[10:11]
	global_load_dwordx2 v[18:19], v[18:19], off
	s_waitcnt vmcnt(0)
	ds_write_b64 v25, v[18:19] offset:2048
.LBB26_14:                              ;   in Loop: Header=BB26_9 Depth=1
	s_or_b64 exec, exec, s[12:13]
	s_and_saveexec_b64 s[12:13], s[34:35]
	s_cbranch_execz .LBB26_16
; %bb.15:                               ;   in Loop: Header=BB26_9 Depth=1
	s_mul_i32 s29, s33, s28
	v_add_u32_e32 v18, s29, v22
	v_ashrrev_i32_e32 v19, 31, v18
	v_lshl_add_u64 v[18:19], v[18:19], 3, s[22:23]
	global_load_dwordx2 v[18:19], v[18:19], off
	s_waitcnt vmcnt(0)
	ds_write_b64 v26, v[18:19]
.LBB26_16:                              ;   in Loop: Header=BB26_9 Depth=1
	s_or_b64 exec, exec, s[12:13]
	s_waitcnt lgkmcnt(0)
	s_barrier
	s_and_saveexec_b64 s[12:13], vcc
	s_cbranch_execz .LBB26_8
; %bb.17:                               ;   in Loop: Header=BB26_9 Depth=1
	s_and_saveexec_b64 s[36:37], s[6:7]
	s_cbranch_execz .LBB26_20
; %bb.18:                               ;   in Loop: Header=BB26_9 Depth=1
	v_mov_b32_e32 v18, v23
	v_mov_b32_e32 v19, v13
	s_mov_b32 s29, s3
.LBB26_19:                              ;   Parent Loop BB26_9 Depth=1
                                        ; =>  This Inner Loop Header: Depth=2
	ds_read_b64 v[20:21], v19
	ds_read_b64 v[28:29], v18
	s_add_i32 s29, s29, -1
	v_add_u32_e32 v19, 8, v19
	v_add_u32_e32 v18, 8, v18
	s_cmp_lg_u32 s29, 0
	s_waitcnt lgkmcnt(0)
	v_xor_b32_e32 v30, 0x80000000, v29
	v_pk_fma_f32 v[10:11], v[28:29], v[20:21], v[10:11] op_sel_hi:[1,0,1]
	v_mov_b32_e32 v31, v28
	v_pk_fma_f32 v[10:11], v[30:31], v[20:21], v[10:11] op_sel:[0,1,0]
	s_cbranch_scc1 .LBB26_19
.LBB26_20:                              ;   in Loop: Header=BB26_9 Depth=1
	s_or_b64 exec, exec, s[36:37]
	s_and_saveexec_b64 s[36:37], s[8:9]
	s_cbranch_execz .LBB26_7
; %bb.21:                               ;   in Loop: Header=BB26_9 Depth=1
	v_mov_b32_e32 v18, v23
	s_mov_b32 s29, s3
	v_mov_b32_e32 v19, v24
.LBB26_22:                              ;   Parent Loop BB26_9 Depth=1
                                        ; =>  This Inner Loop Header: Depth=2
	ds_read_b64 v[20:21], v19
	ds_read_b64 v[28:29], v18
	s_add_i32 s29, s29, -1
	v_add_u32_e32 v19, 8, v19
	v_add_u32_e32 v18, 8, v18
	s_cmp_lg_u32 s29, 0
	s_waitcnt lgkmcnt(0)
	v_xor_b32_e32 v30, 0x80000000, v29
	v_pk_fma_f32 v[0:1], v[28:29], v[20:21], v[0:1] op_sel_hi:[1,0,1]
	v_mov_b32_e32 v31, v28
	v_pk_fma_f32 v[0:1], v[30:31], v[20:21], v[0:1] op_sel:[0,1,0]
	s_cbranch_scc1 .LBB26_22
	s_branch .LBB26_7
.LBB26_23:
	v_mov_b32_e32 v0, 0
	v_mov_b32_e32 v1, v0
	v_mov_b64_e32 v[10:11], v[0:1]
.LBB26_24:
	s_and_b64 s[6:7], s[18:19], vcc
	s_and_b64 exec, exec, s[6:7]
	s_cbranch_execz .LBB26_47
; %bb.25:
	s_mul_i32 s2, s3, s2
	v_add_u32_e32 v12, s2, v12
	s_load_dwordx2 s[2:3], s[0:1], 0x70
	v_cmp_neq_f32_e32 vcc, 0, v4
	s_xor_b64 s[0:1], s[4:5], -1
	v_ashrrev_i32_e32 v13, 31, v12
	s_or_b64 s[4:5], vcc, s[0:1]
	s_waitcnt lgkmcnt(0)
	v_mul_lo_u32 v7, s2, v13
	v_mul_lo_u32 v9, s3, v12
	v_mad_u64_u32 v[14:15], s[6:7], s2, v12, 0
	s_cmp_lg_u32 s16, 1
	v_add3_u32 v15, v15, v7, v9
	s_cselect_b64 s[0:1], -1, 0
	v_lshl_add_u64 v[14:15], v[14:15], 3, s[30:31]
	v_lshl_add_u64 v[12:13], v[12:13], 3, s[30:31]
	v_cmp_gt_i32_e32 vcc, s15, v8
	s_and_saveexec_b64 s[6:7], vcc
	s_cbranch_execz .LBB26_36
; %bb.26:
	v_ashrrev_i32_e32 v9, 31, v8
	s_and_saveexec_b64 s[8:9], s[4:5]
	s_xor_b64 s[8:9], exec, s[8:9]
	s_cbranch_execz .LBB26_31
; %bb.27:
	s_mov_b64 s[10:11], -1
	s_and_b64 vcc, exec, s[0:1]
	s_cbranch_vccz .LBB26_29
; %bb.28:
	v_lshl_add_u64 v[16:17], v[8:9], 3, v[14:15]
	global_load_dwordx2 v[18:19], v[16:17], off
	v_xor_b32_e32 v20, 0x80000000, v3
	v_mov_b32_e32 v21, v2
	v_pk_mul_f32 v[20:21], v[10:11], v[20:21] op_sel:[1,0]
	v_xor_b32_e32 v22, 0x80000000, v5
	v_pk_fma_f32 v[20:21], v[2:3], v[10:11], v[20:21] op_sel_hi:[1,0,1]
	v_mov_b32_e32 v23, v4
	s_mov_b64 s[10:11], 0
	s_waitcnt vmcnt(0)
	v_pk_fma_f32 v[20:21], v[4:5], v[18:19], v[20:21] op_sel_hi:[1,0,1]
	s_nop 0
	v_pk_fma_f32 v[18:19], v[22:23], v[18:19], v[20:21] op_sel:[0,1,0]
	global_store_dwordx2 v[16:17], v[18:19], off
.LBB26_29:
	s_andn2_b64 vcc, exec, s[10:11]
	s_cbranch_vccnz .LBB26_31
; %bb.30:
	v_mul_lo_u32 v7, s3, v8
	v_mul_lo_u32 v16, s2, v9
	v_mad_u64_u32 v[8:9], s[10:11], s2, v8, 0
	v_add3_u32 v9, v9, v16, v7
	v_lshl_add_u64 v[8:9], v[8:9], 3, v[12:13]
	global_load_dwordx2 v[16:17], v[8:9], off
	v_xor_b32_e32 v18, 0x80000000, v3
	v_mov_b32_e32 v19, v2
	v_pk_mul_f32 v[18:19], v[10:11], v[18:19] op_sel:[1,0]
	v_xor_b32_e32 v20, 0x80000000, v5
	v_pk_fma_f32 v[10:11], v[2:3], v[10:11], v[18:19] op_sel_hi:[1,0,1]
	v_mov_b32_e32 v21, v4
	s_waitcnt vmcnt(0)
	v_pk_fma_f32 v[10:11], v[4:5], v[16:17], v[10:11] op_sel_hi:[1,0,1]
	s_nop 0
	v_pk_fma_f32 v[10:11], v[20:21], v[16:17], v[10:11] op_sel:[0,1,0]
	global_store_dwordx2 v[8:9], v[10:11], off
                                        ; implicit-def: $vgpr10_vgpr11
                                        ; implicit-def: $vgpr8
.LBB26_31:
	s_andn2_saveexec_b64 s[8:9], s[8:9]
	s_cbranch_execz .LBB26_36
; %bb.32:
	v_xor_b32_e32 v16, 0x80000000, v3
	v_mov_b32_e32 v17, v2
	v_pk_mul_f32 v[16:17], v[10:11], v[16:17] op_sel:[1,0]
	s_mov_b64 s[8:9], -1
	v_pk_fma_f32 v[10:11], v[2:3], v[10:11], v[16:17] op_sel_hi:[1,0,1]
	s_and_b64 vcc, exec, s[0:1]
	s_cbranch_vccz .LBB26_34
; %bb.33:
	v_lshl_add_u64 v[16:17], v[8:9], 3, v[14:15]
	global_store_dwordx2 v[16:17], v[10:11], off
	s_mov_b64 s[8:9], 0
.LBB26_34:
	s_andn2_b64 vcc, exec, s[8:9]
	s_cbranch_vccnz .LBB26_36
; %bb.35:
	v_mul_lo_u32 v7, s3, v8
	v_mul_lo_u32 v16, s2, v9
	v_mad_u64_u32 v[8:9], s[8:9], s2, v8, 0
	v_add3_u32 v9, v9, v16, v7
	v_lshl_add_u64 v[8:9], v[8:9], 3, v[12:13]
	global_store_dwordx2 v[8:9], v[10:11], off
.LBB26_36:
	s_or_b64 exec, exec, s[6:7]
	v_cmp_gt_i32_e32 vcc, s15, v6
	s_and_b64 exec, exec, vcc
	s_cbranch_execz .LBB26_47
; %bb.37:
	v_cndmask_b32_e64 v8, 0, 1, s[0:1]
	v_ashrrev_i32_e32 v7, 31, v6
	v_cmp_ne_u32_e64 s[0:1], 1, v8
	s_and_saveexec_b64 s[6:7], s[4:5]
	s_xor_b64 s[4:5], exec, s[6:7]
	s_cbranch_execz .LBB26_42
; %bb.38:
	s_and_b64 vcc, exec, s[0:1]
	s_mov_b64 s[6:7], -1
	s_cbranch_vccnz .LBB26_40
; %bb.39:
	v_lshl_add_u64 v[8:9], v[6:7], 3, v[14:15]
	global_load_dwordx2 v[10:11], v[8:9], off
	v_xor_b32_e32 v14, 0x80000000, v3
	v_mov_b32_e32 v15, v2
	v_pk_mul_f32 v[14:15], v[0:1], v[14:15] op_sel:[1,0]
	v_xor_b32_e32 v16, 0x80000000, v5
	v_pk_fma_f32 v[14:15], v[2:3], v[0:1], v[14:15] op_sel_hi:[1,0,1]
	v_mov_b32_e32 v17, v4
	s_mov_b64 s[6:7], 0
	s_waitcnt vmcnt(0)
	v_pk_fma_f32 v[14:15], v[4:5], v[10:11], v[14:15] op_sel_hi:[1,0,1]
	s_nop 0
	v_pk_fma_f32 v[10:11], v[16:17], v[10:11], v[14:15] op_sel:[0,1,0]
	global_store_dwordx2 v[8:9], v[10:11], off
.LBB26_40:
	s_andn2_b64 vcc, exec, s[6:7]
                                        ; implicit-def: $vgpr14_vgpr15
	s_cbranch_vccnz .LBB26_42
; %bb.41:
	v_mul_lo_u32 v8, s3, v6
	v_mul_lo_u32 v9, s2, v7
	v_mad_u64_u32 v[6:7], s[6:7], s2, v6, 0
	v_add3_u32 v7, v7, v9, v8
	v_lshl_add_u64 v[6:7], v[6:7], 3, v[12:13]
	global_load_dwordx2 v[8:9], v[6:7], off
	v_xor_b32_e32 v10, 0x80000000, v3
	v_mov_b32_e32 v11, v2
	v_pk_mul_f32 v[10:11], v[0:1], v[10:11] op_sel:[1,0]
	v_xor_b32_e32 v12, 0x80000000, v5
	v_pk_fma_f32 v[0:1], v[2:3], v[0:1], v[10:11] op_sel_hi:[1,0,1]
	v_mov_b32_e32 v13, v4
                                        ; implicit-def: $vgpr2_vgpr3
                                        ; implicit-def: $vgpr14_vgpr15
	s_waitcnt vmcnt(0)
	v_pk_fma_f32 v[0:1], v[4:5], v[8:9], v[0:1] op_sel_hi:[1,0,1]
	s_nop 0
	v_pk_fma_f32 v[0:1], v[12:13], v[8:9], v[0:1] op_sel:[0,1,0]
	global_store_dwordx2 v[6:7], v[0:1], off
                                        ; implicit-def: $vgpr12_vgpr13
                                        ; implicit-def: $vgpr0_vgpr1
                                        ; implicit-def: $vgpr6
.LBB26_42:
	s_andn2_saveexec_b64 s[4:5], s[4:5]
	s_cbranch_execz .LBB26_47
; %bb.43:
	v_xor_b32_e32 v4, 0x80000000, v3
	v_mov_b32_e32 v5, v2
	v_pk_mul_f32 v[4:5], v[0:1], v[4:5] op_sel:[1,0]
	s_and_b64 vcc, exec, s[0:1]
	v_pk_fma_f32 v[0:1], v[2:3], v[0:1], v[4:5] op_sel_hi:[1,0,1]
	s_mov_b64 s[0:1], -1
	s_cbranch_vccnz .LBB26_45
; %bb.44:
	v_lshl_add_u64 v[2:3], v[6:7], 3, v[14:15]
	s_mov_b64 s[0:1], 0
	global_store_dwordx2 v[2:3], v[0:1], off
.LBB26_45:
	s_andn2_b64 vcc, exec, s[0:1]
	s_cbranch_vccnz .LBB26_47
; %bb.46:
	v_mul_lo_u32 v4, s3, v6
	v_mul_lo_u32 v5, s2, v7
	v_mad_u64_u32 v[2:3], s[0:1], s2, v6, 0
	v_add3_u32 v3, v3, v5, v4
	v_lshl_add_u64 v[2:3], v[2:3], 3, v[12:13]
	global_store_dwordx2 v[2:3], v[0:1], off
.LBB26_47:
	s_endpgm
	.section	.rodata,"a",@progbits
	.p2align	6, 0x0
	.amdhsa_kernel _ZN9rocsparseL31bsrmm_large_blockdim_kernel_extILj16ELj16ELj2Eii21rocsparse_complex_numIfES2_S2_S2_EEvb20rocsparse_direction_T3_S4_llNS_24const_host_device_scalarIT7_EEPKT2_PKS4_PKT4_S4_PKT5_llS7_PT6_ll16rocsparse_order_21rocsparse_index_base_b
		.amdhsa_group_segment_fixed_size 6144
		.amdhsa_private_segment_fixed_size 0
		.amdhsa_kernarg_size 140
		.amdhsa_user_sgpr_count 2
		.amdhsa_user_sgpr_dispatch_ptr 0
		.amdhsa_user_sgpr_queue_ptr 0
		.amdhsa_user_sgpr_kernarg_segment_ptr 1
		.amdhsa_user_sgpr_dispatch_id 0
		.amdhsa_user_sgpr_kernarg_preload_length 0
		.amdhsa_user_sgpr_kernarg_preload_offset 0
		.amdhsa_user_sgpr_private_segment_size 0
		.amdhsa_uses_dynamic_stack 0
		.amdhsa_enable_private_segment 0
		.amdhsa_system_sgpr_workgroup_id_x 1
		.amdhsa_system_sgpr_workgroup_id_y 1
		.amdhsa_system_sgpr_workgroup_id_z 0
		.amdhsa_system_sgpr_workgroup_info 0
		.amdhsa_system_vgpr_workitem_id 1
		.amdhsa_next_free_vgpr 32
		.amdhsa_next_free_sgpr 38
		.amdhsa_accum_offset 32
		.amdhsa_reserve_vcc 1
		.amdhsa_float_round_mode_32 0
		.amdhsa_float_round_mode_16_64 0
		.amdhsa_float_denorm_mode_32 3
		.amdhsa_float_denorm_mode_16_64 3
		.amdhsa_dx10_clamp 1
		.amdhsa_ieee_mode 1
		.amdhsa_fp16_overflow 0
		.amdhsa_tg_split 0
		.amdhsa_exception_fp_ieee_invalid_op 0
		.amdhsa_exception_fp_denorm_src 0
		.amdhsa_exception_fp_ieee_div_zero 0
		.amdhsa_exception_fp_ieee_overflow 0
		.amdhsa_exception_fp_ieee_underflow 0
		.amdhsa_exception_fp_ieee_inexact 0
		.amdhsa_exception_int_div_zero 0
	.end_amdhsa_kernel
	.section	.text._ZN9rocsparseL31bsrmm_large_blockdim_kernel_extILj16ELj16ELj2Eii21rocsparse_complex_numIfES2_S2_S2_EEvb20rocsparse_direction_T3_S4_llNS_24const_host_device_scalarIT7_EEPKT2_PKS4_PKT4_S4_PKT5_llS7_PT6_ll16rocsparse_order_21rocsparse_index_base_b,"axG",@progbits,_ZN9rocsparseL31bsrmm_large_blockdim_kernel_extILj16ELj16ELj2Eii21rocsparse_complex_numIfES2_S2_S2_EEvb20rocsparse_direction_T3_S4_llNS_24const_host_device_scalarIT7_EEPKT2_PKS4_PKT4_S4_PKT5_llS7_PT6_ll16rocsparse_order_21rocsparse_index_base_b,comdat
.Lfunc_end26:
	.size	_ZN9rocsparseL31bsrmm_large_blockdim_kernel_extILj16ELj16ELj2Eii21rocsparse_complex_numIfES2_S2_S2_EEvb20rocsparse_direction_T3_S4_llNS_24const_host_device_scalarIT7_EEPKT2_PKS4_PKT4_S4_PKT5_llS7_PT6_ll16rocsparse_order_21rocsparse_index_base_b, .Lfunc_end26-_ZN9rocsparseL31bsrmm_large_blockdim_kernel_extILj16ELj16ELj2Eii21rocsparse_complex_numIfES2_S2_S2_EEvb20rocsparse_direction_T3_S4_llNS_24const_host_device_scalarIT7_EEPKT2_PKS4_PKT4_S4_PKT5_llS7_PT6_ll16rocsparse_order_21rocsparse_index_base_b
                                        ; -- End function
	.set _ZN9rocsparseL31bsrmm_large_blockdim_kernel_extILj16ELj16ELj2Eii21rocsparse_complex_numIfES2_S2_S2_EEvb20rocsparse_direction_T3_S4_llNS_24const_host_device_scalarIT7_EEPKT2_PKS4_PKT4_S4_PKT5_llS7_PT6_ll16rocsparse_order_21rocsparse_index_base_b.num_vgpr, 32
	.set _ZN9rocsparseL31bsrmm_large_blockdim_kernel_extILj16ELj16ELj2Eii21rocsparse_complex_numIfES2_S2_S2_EEvb20rocsparse_direction_T3_S4_llNS_24const_host_device_scalarIT7_EEPKT2_PKS4_PKT4_S4_PKT5_llS7_PT6_ll16rocsparse_order_21rocsparse_index_base_b.num_agpr, 0
	.set _ZN9rocsparseL31bsrmm_large_blockdim_kernel_extILj16ELj16ELj2Eii21rocsparse_complex_numIfES2_S2_S2_EEvb20rocsparse_direction_T3_S4_llNS_24const_host_device_scalarIT7_EEPKT2_PKS4_PKT4_S4_PKT5_llS7_PT6_ll16rocsparse_order_21rocsparse_index_base_b.numbered_sgpr, 38
	.set _ZN9rocsparseL31bsrmm_large_blockdim_kernel_extILj16ELj16ELj2Eii21rocsparse_complex_numIfES2_S2_S2_EEvb20rocsparse_direction_T3_S4_llNS_24const_host_device_scalarIT7_EEPKT2_PKS4_PKT4_S4_PKT5_llS7_PT6_ll16rocsparse_order_21rocsparse_index_base_b.num_named_barrier, 0
	.set _ZN9rocsparseL31bsrmm_large_blockdim_kernel_extILj16ELj16ELj2Eii21rocsparse_complex_numIfES2_S2_S2_EEvb20rocsparse_direction_T3_S4_llNS_24const_host_device_scalarIT7_EEPKT2_PKS4_PKT4_S4_PKT5_llS7_PT6_ll16rocsparse_order_21rocsparse_index_base_b.private_seg_size, 0
	.set _ZN9rocsparseL31bsrmm_large_blockdim_kernel_extILj16ELj16ELj2Eii21rocsparse_complex_numIfES2_S2_S2_EEvb20rocsparse_direction_T3_S4_llNS_24const_host_device_scalarIT7_EEPKT2_PKS4_PKT4_S4_PKT5_llS7_PT6_ll16rocsparse_order_21rocsparse_index_base_b.uses_vcc, 1
	.set _ZN9rocsparseL31bsrmm_large_blockdim_kernel_extILj16ELj16ELj2Eii21rocsparse_complex_numIfES2_S2_S2_EEvb20rocsparse_direction_T3_S4_llNS_24const_host_device_scalarIT7_EEPKT2_PKS4_PKT4_S4_PKT5_llS7_PT6_ll16rocsparse_order_21rocsparse_index_base_b.uses_flat_scratch, 0
	.set _ZN9rocsparseL31bsrmm_large_blockdim_kernel_extILj16ELj16ELj2Eii21rocsparse_complex_numIfES2_S2_S2_EEvb20rocsparse_direction_T3_S4_llNS_24const_host_device_scalarIT7_EEPKT2_PKS4_PKT4_S4_PKT5_llS7_PT6_ll16rocsparse_order_21rocsparse_index_base_b.has_dyn_sized_stack, 0
	.set _ZN9rocsparseL31bsrmm_large_blockdim_kernel_extILj16ELj16ELj2Eii21rocsparse_complex_numIfES2_S2_S2_EEvb20rocsparse_direction_T3_S4_llNS_24const_host_device_scalarIT7_EEPKT2_PKS4_PKT4_S4_PKT5_llS7_PT6_ll16rocsparse_order_21rocsparse_index_base_b.has_recursion, 0
	.set _ZN9rocsparseL31bsrmm_large_blockdim_kernel_extILj16ELj16ELj2Eii21rocsparse_complex_numIfES2_S2_S2_EEvb20rocsparse_direction_T3_S4_llNS_24const_host_device_scalarIT7_EEPKT2_PKS4_PKT4_S4_PKT5_llS7_PT6_ll16rocsparse_order_21rocsparse_index_base_b.has_indirect_call, 0
	.section	.AMDGPU.csdata,"",@progbits
; Kernel info:
; codeLenInByte = 1980
; TotalNumSgprs: 44
; NumVgprs: 32
; NumAgprs: 0
; TotalNumVgprs: 32
; ScratchSize: 0
; MemoryBound: 0
; FloatMode: 240
; IeeeMode: 1
; LDSByteSize: 6144 bytes/workgroup (compile time only)
; SGPRBlocks: 5
; VGPRBlocks: 3
; NumSGPRsForWavesPerEU: 44
; NumVGPRsForWavesPerEU: 32
; AccumOffset: 32
; Occupancy: 8
; WaveLimiterHint : 1
; COMPUTE_PGM_RSRC2:SCRATCH_EN: 0
; COMPUTE_PGM_RSRC2:USER_SGPR: 2
; COMPUTE_PGM_RSRC2:TRAP_HANDLER: 0
; COMPUTE_PGM_RSRC2:TGID_X_EN: 1
; COMPUTE_PGM_RSRC2:TGID_Y_EN: 1
; COMPUTE_PGM_RSRC2:TGID_Z_EN: 0
; COMPUTE_PGM_RSRC2:TIDIG_COMP_CNT: 1
; COMPUTE_PGM_RSRC3_GFX90A:ACCUM_OFFSET: 7
; COMPUTE_PGM_RSRC3_GFX90A:TG_SPLIT: 0
	.section	.text._ZN9rocsparseL31bsrmm_large_blockdim_kernel_extILj32ELj32ELj2Eii21rocsparse_complex_numIfES2_S2_S2_EEvb20rocsparse_direction_T3_S4_llNS_24const_host_device_scalarIT7_EEPKT2_PKS4_PKT4_S4_PKT5_llS7_PT6_ll16rocsparse_order_21rocsparse_index_base_b,"axG",@progbits,_ZN9rocsparseL31bsrmm_large_blockdim_kernel_extILj32ELj32ELj2Eii21rocsparse_complex_numIfES2_S2_S2_EEvb20rocsparse_direction_T3_S4_llNS_24const_host_device_scalarIT7_EEPKT2_PKS4_PKT4_S4_PKT5_llS7_PT6_ll16rocsparse_order_21rocsparse_index_base_b,comdat
	.globl	_ZN9rocsparseL31bsrmm_large_blockdim_kernel_extILj32ELj32ELj2Eii21rocsparse_complex_numIfES2_S2_S2_EEvb20rocsparse_direction_T3_S4_llNS_24const_host_device_scalarIT7_EEPKT2_PKS4_PKT4_S4_PKT5_llS7_PT6_ll16rocsparse_order_21rocsparse_index_base_b ; -- Begin function _ZN9rocsparseL31bsrmm_large_blockdim_kernel_extILj32ELj32ELj2Eii21rocsparse_complex_numIfES2_S2_S2_EEvb20rocsparse_direction_T3_S4_llNS_24const_host_device_scalarIT7_EEPKT2_PKS4_PKT4_S4_PKT5_llS7_PT6_ll16rocsparse_order_21rocsparse_index_base_b
	.p2align	8
	.type	_ZN9rocsparseL31bsrmm_large_blockdim_kernel_extILj32ELj32ELj2Eii21rocsparse_complex_numIfES2_S2_S2_EEvb20rocsparse_direction_T3_S4_llNS_24const_host_device_scalarIT7_EEPKT2_PKS4_PKT4_S4_PKT5_llS7_PT6_ll16rocsparse_order_21rocsparse_index_base_b,@function
_ZN9rocsparseL31bsrmm_large_blockdim_kernel_extILj32ELj32ELj2Eii21rocsparse_complex_numIfES2_S2_S2_EEvb20rocsparse_direction_T3_S4_llNS_24const_host_device_scalarIT7_EEPKT2_PKS4_PKT4_S4_PKT5_llS7_PT6_ll16rocsparse_order_21rocsparse_index_base_b: ; @_ZN9rocsparseL31bsrmm_large_blockdim_kernel_extILj32ELj32ELj2Eii21rocsparse_complex_numIfES2_S2_S2_EEvb20rocsparse_direction_T3_S4_llNS_24const_host_device_scalarIT7_EEPKT2_PKS4_PKT4_S4_PKT5_llS7_PT6_ll16rocsparse_order_21rocsparse_index_base_b
; %bb.0:
	s_load_dwordx2 s[4:5], s[0:1], 0x20
	s_load_dwordx4 s[16:19], s[0:1], 0x80
	s_mov_b32 s6, s3
	s_add_u32 s3, s0, 32
	s_addc_u32 s7, s1, 0
	s_load_dwordx2 s[8:9], s[0:1], 0x60
	s_add_u32 s10, s0, 0x60
	s_addc_u32 s11, s1, 0
	s_waitcnt lgkmcnt(0)
	s_bitcmp1_b32 s18, 0
	s_cselect_b32 s3, s3, s4
	s_cselect_b32 s5, s7, s5
	v_mov_b32_e32 v2, s3
	s_cselect_b32 s3, s11, s9
	s_cselect_b32 s4, s10, s8
	v_mov_b32_e32 v3, s5
	v_mov_b32_e32 v4, s4
	;; [unrolled: 1-line block ×3, first 2 shown]
	flat_load_dwordx2 v[2:3], v[2:3]
	s_mov_b32 s28, 0
	flat_load_dwordx2 v[4:5], v[4:5]
	s_waitcnt vmcnt(0) lgkmcnt(0)
	v_cmp_eq_f32_e32 vcc, 0, v2
	v_cmp_eq_f32_e64 s[8:9], 0, v3
	v_cmp_eq_f32_e64 s[10:11], 1.0, v4
	v_cmp_eq_f32_e64 s[4:5], 0, v5
	s_and_b64 s[8:9], vcc, s[8:9]
	s_and_b64 s[10:11], s[10:11], s[4:5]
	s_and_b64 s[8:9], s[8:9], s[10:11]
	s_xor_b64 s[8:9], s[8:9], -1
	s_and_saveexec_b64 s[10:11], s[8:9]
	s_cbranch_execz .LBB27_47
; %bb.1:
	s_load_dwordx4 s[12:15], s[0:1], 0x0
	s_load_dwordx2 s[8:9], s[0:1], 0x28
	s_waitcnt lgkmcnt(0)
	s_cmp_lt_i32 s2, s14
	s_cselect_b64 s[18:19], -1, 0
	s_cmp_ge_i32 s2, s14
	s_cbranch_scc1 .LBB27_3
; %bb.2:
	s_ashr_i32 s3, s2, 31
	s_lshl_b64 s[10:11], s[2:3], 2
	s_add_u32 s10, s8, s10
	s_addc_u32 s11, s9, s11
	s_load_dword s3, s[10:11], 0x0
	s_waitcnt lgkmcnt(0)
	s_sub_i32 s28, s3, s17
.LBB27_3:
	s_andn2_b64 vcc, exec, s[18:19]
	s_mov_b32 s14, 0
	s_cbranch_vccnz .LBB27_5
; %bb.4:
	s_ashr_i32 s3, s2, 31
	s_lshl_b64 s[10:11], s[2:3], 2
	s_add_u32 s8, s8, s10
	s_addc_u32 s9, s9, s11
	s_load_dword s3, s[8:9], 0x4
	s_waitcnt lgkmcnt(0)
	s_sub_i32 s14, s3, s17
.LBB27_5:
	s_load_dwordx2 s[30:31], s[0:1], 0x68
	s_load_dword s3, s[0:1], 0x40
	v_bfe_u32 v10, v0, 10, 10
	v_lshl_add_u32 v8, s6, 6, v10
	v_add_u32_e32 v6, 32, v8
	v_and_b32_e32 v12, 0x3ff, v0
	s_waitcnt lgkmcnt(0)
	v_cmp_gt_i32_e32 vcc, s3, v12
	s_cmp_ge_i32 s28, s14
	v_cmp_gt_i32_e64 s[6:7], s15, v8
	v_cmp_gt_i32_e64 s[8:9], s15, v6
	s_cbranch_scc1 .LBB27_23
; %bb.6:
	s_load_dwordx4 s[20:23], s[0:1], 0x30
	s_load_dwordx4 s[24:27], s[0:1], 0x48
	v_cmp_gt_i32_e64 s[10:11], s3, v10
	s_and_b64 s[34:35], vcc, s[10:11]
	s_bitcmp1_b32 s12, 0
	v_mov_b32_e32 v0, 0x4000
	v_lshlrev_b32_e32 v13, 8, v10
	s_cselect_b64 s[10:11], -1, 0
	v_lshl_or_b32 v18, v10, 3, v0
	s_cmp_eq_u32 s13, 0
	v_mad_u64_u32 v[0:1], s[12:13], s3, v10, v[12:13]
	v_mad_u64_u32 v[10:11], s[12:13], s3, v12, v[10:11]
	v_ashrrev_i32_e32 v9, 31, v8
	s_waitcnt lgkmcnt(0)
	v_mul_lo_u32 v7, s27, v8
	v_mul_lo_u32 v11, s26, v9
	v_mad_u64_u32 v[14:15], s[12:13], s26, v8, 0
	v_mad_u64_u32 v[16:17], s[12:13], s26, v6, 0
	v_add3_u32 v15, v15, v11, v7
	v_ashrrev_i32_e32 v7, 31, v6
	s_cselect_b64 s[12:13], -1, 0
	v_mul_lo_u32 v11, s27, v6
	v_mul_lo_u32 v20, s26, v7
	v_cndmask_b32_e64 v22, v0, v10, s[12:13]
	v_mov_b32_e32 v10, 0
	v_lshlrev_b32_e32 v19, 3, v12
	v_lshlrev_b32_e32 v1, 8, v12
	v_add3_u32 v17, v17, v20, v11
	v_mov_b32_e32 v11, v10
	s_mul_i32 s33, s3, s3
	v_add_u32_e32 v23, 0x4000, v1
	v_add_u32_e32 v24, 0x2000, v13
	;; [unrolled: 1-line block ×4, first 2 shown]
	v_mov_b64_e32 v[0:1], v[10:11]
	s_branch .LBB27_9
.LBB27_7:                               ;   in Loop: Header=BB27_9 Depth=1
	s_or_b64 exec, exec, s[36:37]
.LBB27_8:                               ;   in Loop: Header=BB27_9 Depth=1
	s_or_b64 exec, exec, s[12:13]
	s_add_i32 s28, s28, 1
	s_cmp_ge_i32 s28, s14
	s_barrier
	s_cbranch_scc1 .LBB27_24
.LBB27_9:                               ; =>This Loop Header: Depth=1
                                        ;     Child Loop BB27_19 Depth 2
                                        ;     Child Loop BB27_22 Depth 2
	s_and_saveexec_b64 s[12:13], vcc
	s_cbranch_execz .LBB27_14
; %bb.10:                               ;   in Loop: Header=BB27_9 Depth=1
	s_ashr_i32 s29, s28, 31
	s_lshl_b64 s[36:37], s[28:29], 2
	s_add_u32 s36, s20, s36
	s_addc_u32 s37, s21, s37
	s_load_dword s29, s[36:37], 0x0
	s_waitcnt lgkmcnt(0)
	s_sub_i32 s29, s29, s17
	s_mul_i32 s29, s29, s3
	v_add_u32_e32 v20, s29, v12
	v_ashrrev_i32_e32 v21, 31, v20
	v_mul_lo_u32 v27, s27, v20
	v_mad_u64_u32 v[18:19], s[36:37], s26, v20, 0
	v_mul_lo_u32 v28, s26, v21
	v_add3_u32 v19, v19, v28, v27
	v_lshl_add_u64 v[18:19], v[18:19], 3, s[24:25]
	v_lshl_add_u64 v[20:21], v[20:21], 3, s[24:25]
	s_and_saveexec_b64 s[36:37], s[6:7]
	s_cbranch_execz .LBB27_12
; %bb.11:                               ;   in Loop: Header=BB27_9 Depth=1
	v_lshl_add_u64 v[28:29], v[8:9], 3, v[18:19]
	v_lshl_add_u64 v[30:31], v[14:15], 3, v[20:21]
	v_cndmask_b32_e64 v29, v29, v31, s[10:11]
	v_cndmask_b32_e64 v28, v28, v30, s[10:11]
	global_load_dwordx2 v[28:29], v[28:29], off
	s_waitcnt vmcnt(0)
	ds_write_b64 v25, v[28:29]
.LBB27_12:                              ;   in Loop: Header=BB27_9 Depth=1
	s_or_b64 exec, exec, s[36:37]
	s_and_b64 exec, exec, s[8:9]
	s_cbranch_execz .LBB27_14
; %bb.13:                               ;   in Loop: Header=BB27_9 Depth=1
	v_lshl_add_u64 v[20:21], v[16:17], 3, v[20:21]
	v_lshl_add_u64 v[18:19], v[6:7], 3, v[18:19]
	v_cndmask_b32_e64 v19, v19, v21, s[10:11]
	v_cndmask_b32_e64 v18, v18, v20, s[10:11]
	global_load_dwordx2 v[18:19], v[18:19], off
	s_waitcnt vmcnt(0)
	ds_write_b64 v25, v[18:19] offset:8192
.LBB27_14:                              ;   in Loop: Header=BB27_9 Depth=1
	s_or_b64 exec, exec, s[12:13]
	s_and_saveexec_b64 s[12:13], s[34:35]
	s_cbranch_execz .LBB27_16
; %bb.15:                               ;   in Loop: Header=BB27_9 Depth=1
	s_mul_i32 s29, s33, s28
	v_add_u32_e32 v18, s29, v22
	v_ashrrev_i32_e32 v19, 31, v18
	v_lshl_add_u64 v[18:19], v[18:19], 3, s[22:23]
	global_load_dwordx2 v[18:19], v[18:19], off
	s_waitcnt vmcnt(0)
	ds_write_b64 v26, v[18:19]
.LBB27_16:                              ;   in Loop: Header=BB27_9 Depth=1
	s_or_b64 exec, exec, s[12:13]
	s_waitcnt lgkmcnt(0)
	s_barrier
	s_and_saveexec_b64 s[12:13], vcc
	s_cbranch_execz .LBB27_8
; %bb.17:                               ;   in Loop: Header=BB27_9 Depth=1
	s_and_saveexec_b64 s[36:37], s[6:7]
	s_cbranch_execz .LBB27_20
; %bb.18:                               ;   in Loop: Header=BB27_9 Depth=1
	v_mov_b32_e32 v18, v23
	v_mov_b32_e32 v19, v13
	s_mov_b32 s29, s3
.LBB27_19:                              ;   Parent Loop BB27_9 Depth=1
                                        ; =>  This Inner Loop Header: Depth=2
	ds_read_b64 v[20:21], v19
	ds_read_b64 v[28:29], v18
	s_add_i32 s29, s29, -1
	v_add_u32_e32 v19, 8, v19
	v_add_u32_e32 v18, 8, v18
	s_cmp_lg_u32 s29, 0
	s_waitcnt lgkmcnt(0)
	v_xor_b32_e32 v30, 0x80000000, v29
	v_pk_fma_f32 v[10:11], v[28:29], v[20:21], v[10:11] op_sel_hi:[1,0,1]
	v_mov_b32_e32 v31, v28
	v_pk_fma_f32 v[10:11], v[30:31], v[20:21], v[10:11] op_sel:[0,1,0]
	s_cbranch_scc1 .LBB27_19
.LBB27_20:                              ;   in Loop: Header=BB27_9 Depth=1
	s_or_b64 exec, exec, s[36:37]
	s_and_saveexec_b64 s[36:37], s[8:9]
	s_cbranch_execz .LBB27_7
; %bb.21:                               ;   in Loop: Header=BB27_9 Depth=1
	v_mov_b32_e32 v18, v23
	s_mov_b32 s29, s3
	v_mov_b32_e32 v19, v24
.LBB27_22:                              ;   Parent Loop BB27_9 Depth=1
                                        ; =>  This Inner Loop Header: Depth=2
	ds_read_b64 v[20:21], v19
	ds_read_b64 v[28:29], v18
	s_add_i32 s29, s29, -1
	v_add_u32_e32 v19, 8, v19
	v_add_u32_e32 v18, 8, v18
	s_cmp_lg_u32 s29, 0
	s_waitcnt lgkmcnt(0)
	v_xor_b32_e32 v30, 0x80000000, v29
	v_pk_fma_f32 v[0:1], v[28:29], v[20:21], v[0:1] op_sel_hi:[1,0,1]
	v_mov_b32_e32 v31, v28
	v_pk_fma_f32 v[0:1], v[30:31], v[20:21], v[0:1] op_sel:[0,1,0]
	s_cbranch_scc1 .LBB27_22
	s_branch .LBB27_7
.LBB27_23:
	v_mov_b32_e32 v0, 0
	v_mov_b32_e32 v1, v0
	v_mov_b64_e32 v[10:11], v[0:1]
.LBB27_24:
	s_and_b64 s[6:7], s[18:19], vcc
	s_and_b64 exec, exec, s[6:7]
	s_cbranch_execz .LBB27_47
; %bb.25:
	s_mul_i32 s2, s3, s2
	v_add_u32_e32 v12, s2, v12
	s_load_dwordx2 s[2:3], s[0:1], 0x70
	v_cmp_neq_f32_e32 vcc, 0, v4
	s_xor_b64 s[0:1], s[4:5], -1
	v_ashrrev_i32_e32 v13, 31, v12
	s_or_b64 s[4:5], vcc, s[0:1]
	s_waitcnt lgkmcnt(0)
	v_mul_lo_u32 v7, s2, v13
	v_mul_lo_u32 v9, s3, v12
	v_mad_u64_u32 v[14:15], s[6:7], s2, v12, 0
	s_cmp_lg_u32 s16, 1
	v_add3_u32 v15, v15, v7, v9
	s_cselect_b64 s[0:1], -1, 0
	v_lshl_add_u64 v[14:15], v[14:15], 3, s[30:31]
	v_lshl_add_u64 v[12:13], v[12:13], 3, s[30:31]
	v_cmp_gt_i32_e32 vcc, s15, v8
	s_and_saveexec_b64 s[6:7], vcc
	s_cbranch_execz .LBB27_36
; %bb.26:
	v_ashrrev_i32_e32 v9, 31, v8
	s_and_saveexec_b64 s[8:9], s[4:5]
	s_xor_b64 s[8:9], exec, s[8:9]
	s_cbranch_execz .LBB27_31
; %bb.27:
	s_mov_b64 s[10:11], -1
	s_and_b64 vcc, exec, s[0:1]
	s_cbranch_vccz .LBB27_29
; %bb.28:
	v_lshl_add_u64 v[16:17], v[8:9], 3, v[14:15]
	global_load_dwordx2 v[18:19], v[16:17], off
	v_xor_b32_e32 v20, 0x80000000, v3
	v_mov_b32_e32 v21, v2
	v_pk_mul_f32 v[20:21], v[10:11], v[20:21] op_sel:[1,0]
	v_xor_b32_e32 v22, 0x80000000, v5
	v_pk_fma_f32 v[20:21], v[2:3], v[10:11], v[20:21] op_sel_hi:[1,0,1]
	v_mov_b32_e32 v23, v4
	s_mov_b64 s[10:11], 0
	s_waitcnt vmcnt(0)
	v_pk_fma_f32 v[20:21], v[4:5], v[18:19], v[20:21] op_sel_hi:[1,0,1]
	s_nop 0
	v_pk_fma_f32 v[18:19], v[22:23], v[18:19], v[20:21] op_sel:[0,1,0]
	global_store_dwordx2 v[16:17], v[18:19], off
.LBB27_29:
	s_andn2_b64 vcc, exec, s[10:11]
	s_cbranch_vccnz .LBB27_31
; %bb.30:
	v_mul_lo_u32 v7, s3, v8
	v_mul_lo_u32 v16, s2, v9
	v_mad_u64_u32 v[8:9], s[10:11], s2, v8, 0
	v_add3_u32 v9, v9, v16, v7
	v_lshl_add_u64 v[8:9], v[8:9], 3, v[12:13]
	global_load_dwordx2 v[16:17], v[8:9], off
	v_xor_b32_e32 v18, 0x80000000, v3
	v_mov_b32_e32 v19, v2
	v_pk_mul_f32 v[18:19], v[10:11], v[18:19] op_sel:[1,0]
	v_xor_b32_e32 v20, 0x80000000, v5
	v_pk_fma_f32 v[10:11], v[2:3], v[10:11], v[18:19] op_sel_hi:[1,0,1]
	v_mov_b32_e32 v21, v4
	s_waitcnt vmcnt(0)
	v_pk_fma_f32 v[10:11], v[4:5], v[16:17], v[10:11] op_sel_hi:[1,0,1]
	s_nop 0
	v_pk_fma_f32 v[10:11], v[20:21], v[16:17], v[10:11] op_sel:[0,1,0]
	global_store_dwordx2 v[8:9], v[10:11], off
                                        ; implicit-def: $vgpr10_vgpr11
                                        ; implicit-def: $vgpr8
.LBB27_31:
	s_andn2_saveexec_b64 s[8:9], s[8:9]
	s_cbranch_execz .LBB27_36
; %bb.32:
	v_xor_b32_e32 v16, 0x80000000, v3
	v_mov_b32_e32 v17, v2
	v_pk_mul_f32 v[16:17], v[10:11], v[16:17] op_sel:[1,0]
	s_mov_b64 s[8:9], -1
	v_pk_fma_f32 v[10:11], v[2:3], v[10:11], v[16:17] op_sel_hi:[1,0,1]
	s_and_b64 vcc, exec, s[0:1]
	s_cbranch_vccz .LBB27_34
; %bb.33:
	v_lshl_add_u64 v[16:17], v[8:9], 3, v[14:15]
	global_store_dwordx2 v[16:17], v[10:11], off
	s_mov_b64 s[8:9], 0
.LBB27_34:
	s_andn2_b64 vcc, exec, s[8:9]
	s_cbranch_vccnz .LBB27_36
; %bb.35:
	v_mul_lo_u32 v7, s3, v8
	v_mul_lo_u32 v16, s2, v9
	v_mad_u64_u32 v[8:9], s[8:9], s2, v8, 0
	v_add3_u32 v9, v9, v16, v7
	v_lshl_add_u64 v[8:9], v[8:9], 3, v[12:13]
	global_store_dwordx2 v[8:9], v[10:11], off
.LBB27_36:
	s_or_b64 exec, exec, s[6:7]
	v_cmp_gt_i32_e32 vcc, s15, v6
	s_and_b64 exec, exec, vcc
	s_cbranch_execz .LBB27_47
; %bb.37:
	v_cndmask_b32_e64 v8, 0, 1, s[0:1]
	v_ashrrev_i32_e32 v7, 31, v6
	v_cmp_ne_u32_e64 s[0:1], 1, v8
	s_and_saveexec_b64 s[6:7], s[4:5]
	s_xor_b64 s[4:5], exec, s[6:7]
	s_cbranch_execz .LBB27_42
; %bb.38:
	s_and_b64 vcc, exec, s[0:1]
	s_mov_b64 s[6:7], -1
	s_cbranch_vccnz .LBB27_40
; %bb.39:
	v_lshl_add_u64 v[8:9], v[6:7], 3, v[14:15]
	global_load_dwordx2 v[10:11], v[8:9], off
	v_xor_b32_e32 v14, 0x80000000, v3
	v_mov_b32_e32 v15, v2
	v_pk_mul_f32 v[14:15], v[0:1], v[14:15] op_sel:[1,0]
	v_xor_b32_e32 v16, 0x80000000, v5
	v_pk_fma_f32 v[14:15], v[2:3], v[0:1], v[14:15] op_sel_hi:[1,0,1]
	v_mov_b32_e32 v17, v4
	s_mov_b64 s[6:7], 0
	s_waitcnt vmcnt(0)
	v_pk_fma_f32 v[14:15], v[4:5], v[10:11], v[14:15] op_sel_hi:[1,0,1]
	s_nop 0
	v_pk_fma_f32 v[10:11], v[16:17], v[10:11], v[14:15] op_sel:[0,1,0]
	global_store_dwordx2 v[8:9], v[10:11], off
.LBB27_40:
	s_andn2_b64 vcc, exec, s[6:7]
                                        ; implicit-def: $vgpr14_vgpr15
	s_cbranch_vccnz .LBB27_42
; %bb.41:
	v_mul_lo_u32 v8, s3, v6
	v_mul_lo_u32 v9, s2, v7
	v_mad_u64_u32 v[6:7], s[6:7], s2, v6, 0
	v_add3_u32 v7, v7, v9, v8
	v_lshl_add_u64 v[6:7], v[6:7], 3, v[12:13]
	global_load_dwordx2 v[8:9], v[6:7], off
	v_xor_b32_e32 v10, 0x80000000, v3
	v_mov_b32_e32 v11, v2
	v_pk_mul_f32 v[10:11], v[0:1], v[10:11] op_sel:[1,0]
	v_xor_b32_e32 v12, 0x80000000, v5
	v_pk_fma_f32 v[0:1], v[2:3], v[0:1], v[10:11] op_sel_hi:[1,0,1]
	v_mov_b32_e32 v13, v4
                                        ; implicit-def: $vgpr2_vgpr3
                                        ; implicit-def: $vgpr14_vgpr15
	s_waitcnt vmcnt(0)
	v_pk_fma_f32 v[0:1], v[4:5], v[8:9], v[0:1] op_sel_hi:[1,0,1]
	s_nop 0
	v_pk_fma_f32 v[0:1], v[12:13], v[8:9], v[0:1] op_sel:[0,1,0]
	global_store_dwordx2 v[6:7], v[0:1], off
                                        ; implicit-def: $vgpr12_vgpr13
                                        ; implicit-def: $vgpr0_vgpr1
                                        ; implicit-def: $vgpr6
.LBB27_42:
	s_andn2_saveexec_b64 s[4:5], s[4:5]
	s_cbranch_execz .LBB27_47
; %bb.43:
	v_xor_b32_e32 v4, 0x80000000, v3
	v_mov_b32_e32 v5, v2
	v_pk_mul_f32 v[4:5], v[0:1], v[4:5] op_sel:[1,0]
	s_and_b64 vcc, exec, s[0:1]
	v_pk_fma_f32 v[0:1], v[2:3], v[0:1], v[4:5] op_sel_hi:[1,0,1]
	s_mov_b64 s[0:1], -1
	s_cbranch_vccnz .LBB27_45
; %bb.44:
	v_lshl_add_u64 v[2:3], v[6:7], 3, v[14:15]
	s_mov_b64 s[0:1], 0
	global_store_dwordx2 v[2:3], v[0:1], off
.LBB27_45:
	s_andn2_b64 vcc, exec, s[0:1]
	s_cbranch_vccnz .LBB27_47
; %bb.46:
	v_mul_lo_u32 v4, s3, v6
	v_mul_lo_u32 v5, s2, v7
	v_mad_u64_u32 v[2:3], s[0:1], s2, v6, 0
	v_add3_u32 v3, v3, v5, v4
	v_lshl_add_u64 v[2:3], v[2:3], 3, v[12:13]
	global_store_dwordx2 v[2:3], v[0:1], off
.LBB27_47:
	s_endpgm
	.section	.rodata,"a",@progbits
	.p2align	6, 0x0
	.amdhsa_kernel _ZN9rocsparseL31bsrmm_large_blockdim_kernel_extILj32ELj32ELj2Eii21rocsparse_complex_numIfES2_S2_S2_EEvb20rocsparse_direction_T3_S4_llNS_24const_host_device_scalarIT7_EEPKT2_PKS4_PKT4_S4_PKT5_llS7_PT6_ll16rocsparse_order_21rocsparse_index_base_b
		.amdhsa_group_segment_fixed_size 24576
		.amdhsa_private_segment_fixed_size 0
		.amdhsa_kernarg_size 140
		.amdhsa_user_sgpr_count 2
		.amdhsa_user_sgpr_dispatch_ptr 0
		.amdhsa_user_sgpr_queue_ptr 0
		.amdhsa_user_sgpr_kernarg_segment_ptr 1
		.amdhsa_user_sgpr_dispatch_id 0
		.amdhsa_user_sgpr_kernarg_preload_length 0
		.amdhsa_user_sgpr_kernarg_preload_offset 0
		.amdhsa_user_sgpr_private_segment_size 0
		.amdhsa_uses_dynamic_stack 0
		.amdhsa_enable_private_segment 0
		.amdhsa_system_sgpr_workgroup_id_x 1
		.amdhsa_system_sgpr_workgroup_id_y 1
		.amdhsa_system_sgpr_workgroup_id_z 0
		.amdhsa_system_sgpr_workgroup_info 0
		.amdhsa_system_vgpr_workitem_id 1
		.amdhsa_next_free_vgpr 32
		.amdhsa_next_free_sgpr 38
		.amdhsa_accum_offset 32
		.amdhsa_reserve_vcc 1
		.amdhsa_float_round_mode_32 0
		.amdhsa_float_round_mode_16_64 0
		.amdhsa_float_denorm_mode_32 3
		.amdhsa_float_denorm_mode_16_64 3
		.amdhsa_dx10_clamp 1
		.amdhsa_ieee_mode 1
		.amdhsa_fp16_overflow 0
		.amdhsa_tg_split 0
		.amdhsa_exception_fp_ieee_invalid_op 0
		.amdhsa_exception_fp_denorm_src 0
		.amdhsa_exception_fp_ieee_div_zero 0
		.amdhsa_exception_fp_ieee_overflow 0
		.amdhsa_exception_fp_ieee_underflow 0
		.amdhsa_exception_fp_ieee_inexact 0
		.amdhsa_exception_int_div_zero 0
	.end_amdhsa_kernel
	.section	.text._ZN9rocsparseL31bsrmm_large_blockdim_kernel_extILj32ELj32ELj2Eii21rocsparse_complex_numIfES2_S2_S2_EEvb20rocsparse_direction_T3_S4_llNS_24const_host_device_scalarIT7_EEPKT2_PKS4_PKT4_S4_PKT5_llS7_PT6_ll16rocsparse_order_21rocsparse_index_base_b,"axG",@progbits,_ZN9rocsparseL31bsrmm_large_blockdim_kernel_extILj32ELj32ELj2Eii21rocsparse_complex_numIfES2_S2_S2_EEvb20rocsparse_direction_T3_S4_llNS_24const_host_device_scalarIT7_EEPKT2_PKS4_PKT4_S4_PKT5_llS7_PT6_ll16rocsparse_order_21rocsparse_index_base_b,comdat
.Lfunc_end27:
	.size	_ZN9rocsparseL31bsrmm_large_blockdim_kernel_extILj32ELj32ELj2Eii21rocsparse_complex_numIfES2_S2_S2_EEvb20rocsparse_direction_T3_S4_llNS_24const_host_device_scalarIT7_EEPKT2_PKS4_PKT4_S4_PKT5_llS7_PT6_ll16rocsparse_order_21rocsparse_index_base_b, .Lfunc_end27-_ZN9rocsparseL31bsrmm_large_blockdim_kernel_extILj32ELj32ELj2Eii21rocsparse_complex_numIfES2_S2_S2_EEvb20rocsparse_direction_T3_S4_llNS_24const_host_device_scalarIT7_EEPKT2_PKS4_PKT4_S4_PKT5_llS7_PT6_ll16rocsparse_order_21rocsparse_index_base_b
                                        ; -- End function
	.set _ZN9rocsparseL31bsrmm_large_blockdim_kernel_extILj32ELj32ELj2Eii21rocsparse_complex_numIfES2_S2_S2_EEvb20rocsparse_direction_T3_S4_llNS_24const_host_device_scalarIT7_EEPKT2_PKS4_PKT4_S4_PKT5_llS7_PT6_ll16rocsparse_order_21rocsparse_index_base_b.num_vgpr, 32
	.set _ZN9rocsparseL31bsrmm_large_blockdim_kernel_extILj32ELj32ELj2Eii21rocsparse_complex_numIfES2_S2_S2_EEvb20rocsparse_direction_T3_S4_llNS_24const_host_device_scalarIT7_EEPKT2_PKS4_PKT4_S4_PKT5_llS7_PT6_ll16rocsparse_order_21rocsparse_index_base_b.num_agpr, 0
	.set _ZN9rocsparseL31bsrmm_large_blockdim_kernel_extILj32ELj32ELj2Eii21rocsparse_complex_numIfES2_S2_S2_EEvb20rocsparse_direction_T3_S4_llNS_24const_host_device_scalarIT7_EEPKT2_PKS4_PKT4_S4_PKT5_llS7_PT6_ll16rocsparse_order_21rocsparse_index_base_b.numbered_sgpr, 38
	.set _ZN9rocsparseL31bsrmm_large_blockdim_kernel_extILj32ELj32ELj2Eii21rocsparse_complex_numIfES2_S2_S2_EEvb20rocsparse_direction_T3_S4_llNS_24const_host_device_scalarIT7_EEPKT2_PKS4_PKT4_S4_PKT5_llS7_PT6_ll16rocsparse_order_21rocsparse_index_base_b.num_named_barrier, 0
	.set _ZN9rocsparseL31bsrmm_large_blockdim_kernel_extILj32ELj32ELj2Eii21rocsparse_complex_numIfES2_S2_S2_EEvb20rocsparse_direction_T3_S4_llNS_24const_host_device_scalarIT7_EEPKT2_PKS4_PKT4_S4_PKT5_llS7_PT6_ll16rocsparse_order_21rocsparse_index_base_b.private_seg_size, 0
	.set _ZN9rocsparseL31bsrmm_large_blockdim_kernel_extILj32ELj32ELj2Eii21rocsparse_complex_numIfES2_S2_S2_EEvb20rocsparse_direction_T3_S4_llNS_24const_host_device_scalarIT7_EEPKT2_PKS4_PKT4_S4_PKT5_llS7_PT6_ll16rocsparse_order_21rocsparse_index_base_b.uses_vcc, 1
	.set _ZN9rocsparseL31bsrmm_large_blockdim_kernel_extILj32ELj32ELj2Eii21rocsparse_complex_numIfES2_S2_S2_EEvb20rocsparse_direction_T3_S4_llNS_24const_host_device_scalarIT7_EEPKT2_PKS4_PKT4_S4_PKT5_llS7_PT6_ll16rocsparse_order_21rocsparse_index_base_b.uses_flat_scratch, 0
	.set _ZN9rocsparseL31bsrmm_large_blockdim_kernel_extILj32ELj32ELj2Eii21rocsparse_complex_numIfES2_S2_S2_EEvb20rocsparse_direction_T3_S4_llNS_24const_host_device_scalarIT7_EEPKT2_PKS4_PKT4_S4_PKT5_llS7_PT6_ll16rocsparse_order_21rocsparse_index_base_b.has_dyn_sized_stack, 0
	.set _ZN9rocsparseL31bsrmm_large_blockdim_kernel_extILj32ELj32ELj2Eii21rocsparse_complex_numIfES2_S2_S2_EEvb20rocsparse_direction_T3_S4_llNS_24const_host_device_scalarIT7_EEPKT2_PKS4_PKT4_S4_PKT5_llS7_PT6_ll16rocsparse_order_21rocsparse_index_base_b.has_recursion, 0
	.set _ZN9rocsparseL31bsrmm_large_blockdim_kernel_extILj32ELj32ELj2Eii21rocsparse_complex_numIfES2_S2_S2_EEvb20rocsparse_direction_T3_S4_llNS_24const_host_device_scalarIT7_EEPKT2_PKS4_PKT4_S4_PKT5_llS7_PT6_ll16rocsparse_order_21rocsparse_index_base_b.has_indirect_call, 0
	.section	.AMDGPU.csdata,"",@progbits
; Kernel info:
; codeLenInByte = 1980
; TotalNumSgprs: 44
; NumVgprs: 32
; NumAgprs: 0
; TotalNumVgprs: 32
; ScratchSize: 0
; MemoryBound: 0
; FloatMode: 240
; IeeeMode: 1
; LDSByteSize: 24576 bytes/workgroup (compile time only)
; SGPRBlocks: 5
; VGPRBlocks: 3
; NumSGPRsForWavesPerEU: 44
; NumVGPRsForWavesPerEU: 32
; AccumOffset: 32
; Occupancy: 8
; WaveLimiterHint : 1
; COMPUTE_PGM_RSRC2:SCRATCH_EN: 0
; COMPUTE_PGM_RSRC2:USER_SGPR: 2
; COMPUTE_PGM_RSRC2:TRAP_HANDLER: 0
; COMPUTE_PGM_RSRC2:TGID_X_EN: 1
; COMPUTE_PGM_RSRC2:TGID_Y_EN: 1
; COMPUTE_PGM_RSRC2:TGID_Z_EN: 0
; COMPUTE_PGM_RSRC2:TIDIG_COMP_CNT: 1
; COMPUTE_PGM_RSRC3_GFX90A:ACCUM_OFFSET: 7
; COMPUTE_PGM_RSRC3_GFX90A:TG_SPLIT: 0
	.section	.text._ZN9rocsparseL31bsrmm_large_blockdim_kernel_extILj8ELj8ELj2Eli21rocsparse_complex_numIfES2_S2_S2_EEvb20rocsparse_direction_T3_S4_llNS_24const_host_device_scalarIT7_EEPKT2_PKS4_PKT4_S4_PKT5_llS7_PT6_ll16rocsparse_order_21rocsparse_index_base_b,"axG",@progbits,_ZN9rocsparseL31bsrmm_large_blockdim_kernel_extILj8ELj8ELj2Eli21rocsparse_complex_numIfES2_S2_S2_EEvb20rocsparse_direction_T3_S4_llNS_24const_host_device_scalarIT7_EEPKT2_PKS4_PKT4_S4_PKT5_llS7_PT6_ll16rocsparse_order_21rocsparse_index_base_b,comdat
	.globl	_ZN9rocsparseL31bsrmm_large_blockdim_kernel_extILj8ELj8ELj2Eli21rocsparse_complex_numIfES2_S2_S2_EEvb20rocsparse_direction_T3_S4_llNS_24const_host_device_scalarIT7_EEPKT2_PKS4_PKT4_S4_PKT5_llS7_PT6_ll16rocsparse_order_21rocsparse_index_base_b ; -- Begin function _ZN9rocsparseL31bsrmm_large_blockdim_kernel_extILj8ELj8ELj2Eli21rocsparse_complex_numIfES2_S2_S2_EEvb20rocsparse_direction_T3_S4_llNS_24const_host_device_scalarIT7_EEPKT2_PKS4_PKT4_S4_PKT5_llS7_PT6_ll16rocsparse_order_21rocsparse_index_base_b
	.p2align	8
	.type	_ZN9rocsparseL31bsrmm_large_blockdim_kernel_extILj8ELj8ELj2Eli21rocsparse_complex_numIfES2_S2_S2_EEvb20rocsparse_direction_T3_S4_llNS_24const_host_device_scalarIT7_EEPKT2_PKS4_PKT4_S4_PKT5_llS7_PT6_ll16rocsparse_order_21rocsparse_index_base_b,@function
_ZN9rocsparseL31bsrmm_large_blockdim_kernel_extILj8ELj8ELj2Eli21rocsparse_complex_numIfES2_S2_S2_EEvb20rocsparse_direction_T3_S4_llNS_24const_host_device_scalarIT7_EEPKT2_PKS4_PKT4_S4_PKT5_llS7_PT6_ll16rocsparse_order_21rocsparse_index_base_b: ; @_ZN9rocsparseL31bsrmm_large_blockdim_kernel_extILj8ELj8ELj2Eli21rocsparse_complex_numIfES2_S2_S2_EEvb20rocsparse_direction_T3_S4_llNS_24const_host_device_scalarIT7_EEPKT2_PKS4_PKT4_S4_PKT5_llS7_PT6_ll16rocsparse_order_21rocsparse_index_base_b
; %bb.0:
	s_load_dwordx2 s[4:5], s[0:1], 0x20
	s_load_dwordx4 s[20:23], s[0:1], 0x80
	s_mov_b32 s6, s3
	s_add_u32 s3, s0, 32
	s_addc_u32 s7, s1, 0
	s_load_dwordx2 s[8:9], s[0:1], 0x60
	s_add_u32 s10, s0, 0x60
	s_addc_u32 s11, s1, 0
	s_waitcnt lgkmcnt(0)
	s_bitcmp1_b32 s22, 0
	s_cselect_b32 s3, s3, s4
	s_cselect_b32 s5, s7, s5
	v_mov_b32_e32 v2, s3
	s_cselect_b32 s3, s11, s9
	s_cselect_b32 s4, s10, s8
	v_mov_b32_e32 v3, s5
	v_mov_b32_e32 v4, s4
	;; [unrolled: 1-line block ×3, first 2 shown]
	flat_load_dwordx2 v[2:3], v[2:3]
	s_waitcnt vmcnt(0) lgkmcnt(0)
	v_cmp_eq_f32_e32 vcc, 0, v2
	flat_load_dwordx2 v[4:5], v[4:5]
	v_cmp_eq_f32_e64 s[8:9], 0, v3
	s_and_b64 s[8:9], vcc, s[8:9]
	s_waitcnt vmcnt(0) lgkmcnt(0)
	v_cmp_eq_f32_e64 s[10:11], 1.0, v4
	v_cmp_eq_f32_e64 s[4:5], 0, v5
	s_and_b64 s[10:11], s[10:11], s[4:5]
	s_and_b64 s[8:9], s[8:9], s[10:11]
	s_xor_b64 s[8:9], s[8:9], -1
	s_and_saveexec_b64 s[10:11], s[8:9]
	s_cbranch_execz .LBB28_47
; %bb.1:
	s_load_dwordx4 s[16:19], s[0:1], 0x0
	s_load_dwordx2 s[8:9], s[0:1], 0x28
	s_mov_b64 s[34:35], 0
	s_mov_b64 s[36:37], 0
	s_waitcnt lgkmcnt(0)
	s_cmp_lt_i32 s2, s18
	s_cselect_b64 s[14:15], -1, 0
	s_cmp_ge_i32 s2, s18
	s_cbranch_scc1 .LBB28_3
; %bb.2:
	s_ashr_i32 s3, s2, 31
	s_lshl_b64 s[10:11], s[2:3], 3
	s_add_u32 s10, s8, s10
	s_addc_u32 s11, s9, s11
	s_load_dwordx2 s[10:11], s[10:11], 0x0
	s_waitcnt lgkmcnt(0)
	s_sub_u32 s36, s10, s21
	s_subb_u32 s37, s11, 0
.LBB28_3:
	s_andn2_b64 vcc, exec, s[14:15]
	s_cbranch_vccnz .LBB28_5
; %bb.4:
	s_ashr_i32 s3, s2, 31
	s_lshl_b64 s[10:11], s[2:3], 3
	s_add_u32 s8, s8, s10
	s_addc_u32 s9, s9, s11
	s_load_dwordx2 s[8:9], s[8:9], 0x8
	s_waitcnt lgkmcnt(0)
	s_sub_u32 s34, s8, s21
	s_subb_u32 s35, s9, 0
.LBB28_5:
	s_load_dwordx2 s[22:23], s[0:1], 0x68
	s_load_dword s3, s[0:1], 0x40
	v_bfe_u32 v1, v0, 10, 10
	v_lshl_add_u32 v8, s6, 4, v1
	v_mov_b64_e32 v[10:11], s[34:35]
	v_add_u32_e32 v6, 8, v8
	v_and_b32_e32 v22, 0x3ff, v0
	v_cmp_ge_i64_e32 vcc, s[36:37], v[10:11]
	s_waitcnt lgkmcnt(0)
	v_cmp_gt_i32_e64 s[6:7], s3, v22
	v_cmp_gt_i32_e64 s[8:9], s19, v8
	;; [unrolled: 1-line block ×3, first 2 shown]
	s_cbranch_vccnz .LBB28_23
; %bb.6:
	s_load_dwordx4 s[24:27], s[0:1], 0x30
	s_load_dwordx4 s[28:31], s[0:1], 0x48
	v_cmp_gt_i32_e32 vcc, s3, v1
	v_mul_lo_u32 v10, s3, v1
	v_mov_b32_e32 v11, 0
	s_and_b64 s[38:39], s[6:7], vcc
	v_lshlrev_b32_e32 v18, 3, v22
	s_waitcnt lgkmcnt(0)
	v_lshl_add_u64 v[12:13], v[10:11], 3, s[26:27]
	v_mov_b32_e32 v19, v11
	v_mul_lo_u32 v10, s3, v22
	s_bitcmp1_b32 s16, 0
	v_lshlrev_b32_e32 v0, 3, v1
	v_lshlrev_b32_e32 v23, 6, v1
	v_lshl_add_u64 v[16:17], v[12:13], 0, v[18:19]
	v_lshl_add_u64 v[12:13], v[10:11], 3, s[26:27]
	v_mov_b32_e32 v1, v11
	v_ashrrev_i32_e32 v9, 31, v8
	s_cselect_b64 s[12:13], -1, 0
	v_add_u32_e32 v20, 0x400, v0
	s_cmp_eq_u32 s17, 0
	v_lshl_add_u64 v[0:1], v[12:13], 0, v[0:1]
	v_mul_lo_u32 v7, s31, v8
	v_mul_lo_u32 v10, s30, v9
	v_mad_u64_u32 v[12:13], s[16:17], s30, v8, 0
	v_add3_u32 v13, v13, v10, v7
	v_ashrrev_i32_e32 v7, 31, v6
	v_mul_lo_u32 v10, s31, v6
	v_mul_lo_u32 v21, s30, v7
	v_mad_u64_u32 v[14:15], s[16:17], s30, v6, 0
	v_lshlrev_b32_e32 v19, 6, v22
	v_add3_u32 v15, v15, v21, v10
	s_cselect_b64 vcc, -1, 0
	v_mov_b32_e32 v10, v11
	s_mul_i32 s18, s3, s3
	v_cndmask_b32_e32 v17, v17, v1, vcc
	v_cndmask_b32_e32 v16, v16, v0, vcc
	v_add_u32_e32 v24, 0x400, v19
	v_add_u32_e32 v25, 0x200, v23
	;; [unrolled: 1-line block ×4, first 2 shown]
	v_mov_b64_e32 v[0:1], v[10:11]
	s_branch .LBB28_9
.LBB28_7:                               ;   in Loop: Header=BB28_9 Depth=1
	s_or_b64 exec, exec, s[26:27]
.LBB28_8:                               ;   in Loop: Header=BB28_9 Depth=1
	s_or_b64 exec, exec, s[16:17]
	s_add_u32 s36, s36, 1
	s_addc_u32 s37, s37, 0
	v_mov_b64_e32 v[18:19], s[34:35]
	v_cmp_ge_i64_e32 vcc, s[36:37], v[18:19]
	; wave barrier
	s_cbranch_vccnz .LBB28_24
.LBB28_9:                               ; =>This Loop Header: Depth=1
                                        ;     Child Loop BB28_19 Depth 2
                                        ;     Child Loop BB28_22 Depth 2
	s_and_saveexec_b64 s[16:17], s[6:7]
	s_cbranch_execz .LBB28_14
; %bb.10:                               ;   in Loop: Header=BB28_9 Depth=1
	s_lshl_b64 s[26:27], s[36:37], 2
	s_add_u32 s26, s24, s26
	s_addc_u32 s27, s25, s27
	s_load_dword s26, s[26:27], 0x0
	s_waitcnt lgkmcnt(0)
	s_sub_i32 s26, s26, s21
	s_mul_i32 s26, s26, s3
	v_add_u32_e32 v20, s26, v22
	v_ashrrev_i32_e32 v21, 31, v20
	v_mul_lo_u32 v28, s31, v20
	v_mad_u64_u32 v[18:19], s[26:27], s30, v20, 0
	v_mul_lo_u32 v29, s30, v21
	v_add3_u32 v19, v19, v29, v28
	v_lshl_add_u64 v[18:19], v[18:19], 3, s[28:29]
	v_lshl_add_u64 v[20:21], v[20:21], 3, s[28:29]
	s_and_saveexec_b64 s[26:27], s[8:9]
	s_cbranch_execz .LBB28_12
; %bb.11:                               ;   in Loop: Header=BB28_9 Depth=1
	v_lshl_add_u64 v[28:29], v[8:9], 3, v[18:19]
	v_lshl_add_u64 v[30:31], v[12:13], 3, v[20:21]
	v_cndmask_b32_e64 v29, v29, v31, s[12:13]
	v_cndmask_b32_e64 v28, v28, v30, s[12:13]
	global_load_dwordx2 v[28:29], v[28:29], off
	s_waitcnt vmcnt(0)
	ds_write_b64 v27, v[28:29]
.LBB28_12:                              ;   in Loop: Header=BB28_9 Depth=1
	s_or_b64 exec, exec, s[26:27]
	s_and_b64 exec, exec, s[10:11]
	s_cbranch_execz .LBB28_14
; %bb.13:                               ;   in Loop: Header=BB28_9 Depth=1
	v_lshl_add_u64 v[20:21], v[14:15], 3, v[20:21]
	v_lshl_add_u64 v[18:19], v[6:7], 3, v[18:19]
	v_cndmask_b32_e64 v19, v19, v21, s[12:13]
	v_cndmask_b32_e64 v18, v18, v20, s[12:13]
	global_load_dwordx2 v[18:19], v[18:19], off
	s_waitcnt vmcnt(0)
	ds_write_b64 v27, v[18:19] offset:512
.LBB28_14:                              ;   in Loop: Header=BB28_9 Depth=1
	s_or_b64 exec, exec, s[16:17]
	s_and_saveexec_b64 s[16:17], s[38:39]
	s_cbranch_execz .LBB28_16
; %bb.15:                               ;   in Loop: Header=BB28_9 Depth=1
	s_mul_i32 s26, s37, s18
	s_mul_hi_u32 s27, s36, s18
	s_add_i32 s27, s27, s26
	s_mul_i32 s26, s36, s18
	v_lshl_add_u64 v[18:19], s[26:27], 3, v[16:17]
	global_load_dwordx2 v[18:19], v[18:19], off
	s_waitcnt vmcnt(0)
	ds_write_b64 v26, v[18:19]
.LBB28_16:                              ;   in Loop: Header=BB28_9 Depth=1
	s_or_b64 exec, exec, s[16:17]
	s_waitcnt lgkmcnt(0)
	; wave barrier
	s_and_saveexec_b64 s[16:17], s[6:7]
	s_cbranch_execz .LBB28_8
; %bb.17:                               ;   in Loop: Header=BB28_9 Depth=1
	s_and_saveexec_b64 s[26:27], s[8:9]
	s_cbranch_execz .LBB28_20
; %bb.18:                               ;   in Loop: Header=BB28_9 Depth=1
	v_mov_b32_e32 v18, v24
	v_mov_b32_e32 v19, v23
	s_mov_b32 s33, s3
.LBB28_19:                              ;   Parent Loop BB28_9 Depth=1
                                        ; =>  This Inner Loop Header: Depth=2
	ds_read_b64 v[20:21], v19
	ds_read_b64 v[28:29], v18
	s_add_i32 s33, s33, -1
	v_add_u32_e32 v19, 8, v19
	v_add_u32_e32 v18, 8, v18
	s_cmp_lg_u32 s33, 0
	s_waitcnt lgkmcnt(0)
	v_xor_b32_e32 v30, 0x80000000, v29
	v_pk_fma_f32 v[10:11], v[28:29], v[20:21], v[10:11] op_sel_hi:[1,0,1]
	v_mov_b32_e32 v31, v28
	v_pk_fma_f32 v[10:11], v[30:31], v[20:21], v[10:11] op_sel:[0,1,0]
	s_cbranch_scc1 .LBB28_19
.LBB28_20:                              ;   in Loop: Header=BB28_9 Depth=1
	s_or_b64 exec, exec, s[26:27]
	s_and_saveexec_b64 s[26:27], s[10:11]
	s_cbranch_execz .LBB28_7
; %bb.21:                               ;   in Loop: Header=BB28_9 Depth=1
	v_mov_b32_e32 v18, v24
	s_mov_b32 s33, s3
	v_mov_b32_e32 v19, v25
.LBB28_22:                              ;   Parent Loop BB28_9 Depth=1
                                        ; =>  This Inner Loop Header: Depth=2
	ds_read_b64 v[20:21], v19
	ds_read_b64 v[28:29], v18
	s_add_i32 s33, s33, -1
	v_add_u32_e32 v19, 8, v19
	v_add_u32_e32 v18, 8, v18
	s_cmp_lg_u32 s33, 0
	s_waitcnt lgkmcnt(0)
	v_xor_b32_e32 v30, 0x80000000, v29
	v_pk_fma_f32 v[0:1], v[28:29], v[20:21], v[0:1] op_sel_hi:[1,0,1]
	v_mov_b32_e32 v31, v28
	v_pk_fma_f32 v[0:1], v[30:31], v[20:21], v[0:1] op_sel:[0,1,0]
	s_cbranch_scc1 .LBB28_22
	s_branch .LBB28_7
.LBB28_23:
	v_mov_b32_e32 v0, 0
	v_mov_b32_e32 v1, v0
	v_mov_b64_e32 v[10:11], v[0:1]
.LBB28_24:
	s_and_b64 s[6:7], s[14:15], s[6:7]
	s_and_b64 exec, exec, s[6:7]
	s_cbranch_execz .LBB28_47
; %bb.25:
	s_mul_i32 s2, s3, s2
	v_add_u32_e32 v12, s2, v22
	s_load_dwordx2 s[2:3], s[0:1], 0x70
	v_cmp_neq_f32_e32 vcc, 0, v4
	s_xor_b64 s[0:1], s[4:5], -1
	v_ashrrev_i32_e32 v13, 31, v12
	s_or_b64 s[4:5], vcc, s[0:1]
	s_waitcnt lgkmcnt(0)
	v_mul_lo_u32 v7, s2, v13
	v_mul_lo_u32 v9, s3, v12
	v_mad_u64_u32 v[14:15], s[6:7], s2, v12, 0
	s_cmp_lg_u32 s20, 1
	v_add3_u32 v15, v15, v7, v9
	s_cselect_b64 s[0:1], -1, 0
	v_lshl_add_u64 v[14:15], v[14:15], 3, s[22:23]
	v_lshl_add_u64 v[12:13], v[12:13], 3, s[22:23]
	v_cmp_gt_i32_e32 vcc, s19, v8
	s_and_saveexec_b64 s[6:7], vcc
	s_cbranch_execz .LBB28_36
; %bb.26:
	v_ashrrev_i32_e32 v9, 31, v8
	s_and_saveexec_b64 s[8:9], s[4:5]
	s_xor_b64 s[8:9], exec, s[8:9]
	s_cbranch_execz .LBB28_31
; %bb.27:
	s_mov_b64 s[10:11], -1
	s_and_b64 vcc, exec, s[0:1]
	s_cbranch_vccz .LBB28_29
; %bb.28:
	v_lshl_add_u64 v[16:17], v[8:9], 3, v[14:15]
	global_load_dwordx2 v[18:19], v[16:17], off
	v_xor_b32_e32 v20, 0x80000000, v3
	v_mov_b32_e32 v21, v2
	v_pk_mul_f32 v[20:21], v[10:11], v[20:21] op_sel:[1,0]
	v_xor_b32_e32 v22, 0x80000000, v5
	v_pk_fma_f32 v[20:21], v[2:3], v[10:11], v[20:21] op_sel_hi:[1,0,1]
	v_mov_b32_e32 v23, v4
	s_mov_b64 s[10:11], 0
	s_waitcnt vmcnt(0)
	v_pk_fma_f32 v[20:21], v[4:5], v[18:19], v[20:21] op_sel_hi:[1,0,1]
	s_nop 0
	v_pk_fma_f32 v[18:19], v[22:23], v[18:19], v[20:21] op_sel:[0,1,0]
	global_store_dwordx2 v[16:17], v[18:19], off
.LBB28_29:
	s_andn2_b64 vcc, exec, s[10:11]
	s_cbranch_vccnz .LBB28_31
; %bb.30:
	v_mul_lo_u32 v7, s3, v8
	v_mul_lo_u32 v16, s2, v9
	v_mad_u64_u32 v[8:9], s[10:11], s2, v8, 0
	v_add3_u32 v9, v9, v16, v7
	v_lshl_add_u64 v[8:9], v[8:9], 3, v[12:13]
	global_load_dwordx2 v[16:17], v[8:9], off
	v_xor_b32_e32 v18, 0x80000000, v3
	v_mov_b32_e32 v19, v2
	v_pk_mul_f32 v[18:19], v[10:11], v[18:19] op_sel:[1,0]
	v_xor_b32_e32 v20, 0x80000000, v5
	v_pk_fma_f32 v[10:11], v[2:3], v[10:11], v[18:19] op_sel_hi:[1,0,1]
	v_mov_b32_e32 v21, v4
	s_waitcnt vmcnt(0)
	v_pk_fma_f32 v[10:11], v[4:5], v[16:17], v[10:11] op_sel_hi:[1,0,1]
	s_nop 0
	v_pk_fma_f32 v[10:11], v[20:21], v[16:17], v[10:11] op_sel:[0,1,0]
	global_store_dwordx2 v[8:9], v[10:11], off
                                        ; implicit-def: $vgpr10_vgpr11
                                        ; implicit-def: $vgpr8
.LBB28_31:
	s_andn2_saveexec_b64 s[8:9], s[8:9]
	s_cbranch_execz .LBB28_36
; %bb.32:
	v_xor_b32_e32 v16, 0x80000000, v3
	v_mov_b32_e32 v17, v2
	v_pk_mul_f32 v[16:17], v[10:11], v[16:17] op_sel:[1,0]
	s_mov_b64 s[8:9], -1
	v_pk_fma_f32 v[10:11], v[2:3], v[10:11], v[16:17] op_sel_hi:[1,0,1]
	s_and_b64 vcc, exec, s[0:1]
	s_cbranch_vccz .LBB28_34
; %bb.33:
	v_lshl_add_u64 v[16:17], v[8:9], 3, v[14:15]
	global_store_dwordx2 v[16:17], v[10:11], off
	s_mov_b64 s[8:9], 0
.LBB28_34:
	s_andn2_b64 vcc, exec, s[8:9]
	s_cbranch_vccnz .LBB28_36
; %bb.35:
	v_mul_lo_u32 v7, s3, v8
	v_mul_lo_u32 v16, s2, v9
	v_mad_u64_u32 v[8:9], s[8:9], s2, v8, 0
	v_add3_u32 v9, v9, v16, v7
	v_lshl_add_u64 v[8:9], v[8:9], 3, v[12:13]
	global_store_dwordx2 v[8:9], v[10:11], off
.LBB28_36:
	s_or_b64 exec, exec, s[6:7]
	v_cmp_gt_i32_e32 vcc, s19, v6
	s_and_b64 exec, exec, vcc
	s_cbranch_execz .LBB28_47
; %bb.37:
	v_cndmask_b32_e64 v8, 0, 1, s[0:1]
	v_ashrrev_i32_e32 v7, 31, v6
	v_cmp_ne_u32_e64 s[0:1], 1, v8
	s_and_saveexec_b64 s[6:7], s[4:5]
	s_xor_b64 s[4:5], exec, s[6:7]
	s_cbranch_execz .LBB28_42
; %bb.38:
	s_and_b64 vcc, exec, s[0:1]
	s_mov_b64 s[6:7], -1
	s_cbranch_vccnz .LBB28_40
; %bb.39:
	v_lshl_add_u64 v[8:9], v[6:7], 3, v[14:15]
	global_load_dwordx2 v[10:11], v[8:9], off
	v_xor_b32_e32 v14, 0x80000000, v3
	v_mov_b32_e32 v15, v2
	v_pk_mul_f32 v[14:15], v[0:1], v[14:15] op_sel:[1,0]
	v_xor_b32_e32 v16, 0x80000000, v5
	v_pk_fma_f32 v[14:15], v[2:3], v[0:1], v[14:15] op_sel_hi:[1,0,1]
	v_mov_b32_e32 v17, v4
	s_mov_b64 s[6:7], 0
	s_waitcnt vmcnt(0)
	v_pk_fma_f32 v[14:15], v[4:5], v[10:11], v[14:15] op_sel_hi:[1,0,1]
	s_nop 0
	v_pk_fma_f32 v[10:11], v[16:17], v[10:11], v[14:15] op_sel:[0,1,0]
	global_store_dwordx2 v[8:9], v[10:11], off
.LBB28_40:
	s_andn2_b64 vcc, exec, s[6:7]
                                        ; implicit-def: $vgpr14_vgpr15
	s_cbranch_vccnz .LBB28_42
; %bb.41:
	v_mul_lo_u32 v8, s3, v6
	v_mul_lo_u32 v9, s2, v7
	v_mad_u64_u32 v[6:7], s[6:7], s2, v6, 0
	v_add3_u32 v7, v7, v9, v8
	v_lshl_add_u64 v[6:7], v[6:7], 3, v[12:13]
	global_load_dwordx2 v[8:9], v[6:7], off
	v_xor_b32_e32 v10, 0x80000000, v3
	v_mov_b32_e32 v11, v2
	v_pk_mul_f32 v[10:11], v[0:1], v[10:11] op_sel:[1,0]
	v_xor_b32_e32 v12, 0x80000000, v5
	v_pk_fma_f32 v[0:1], v[2:3], v[0:1], v[10:11] op_sel_hi:[1,0,1]
	v_mov_b32_e32 v13, v4
                                        ; implicit-def: $vgpr2_vgpr3
                                        ; implicit-def: $vgpr14_vgpr15
	s_waitcnt vmcnt(0)
	v_pk_fma_f32 v[0:1], v[4:5], v[8:9], v[0:1] op_sel_hi:[1,0,1]
	s_nop 0
	v_pk_fma_f32 v[0:1], v[12:13], v[8:9], v[0:1] op_sel:[0,1,0]
	global_store_dwordx2 v[6:7], v[0:1], off
                                        ; implicit-def: $vgpr12_vgpr13
                                        ; implicit-def: $vgpr0_vgpr1
                                        ; implicit-def: $vgpr6
.LBB28_42:
	s_andn2_saveexec_b64 s[4:5], s[4:5]
	s_cbranch_execz .LBB28_47
; %bb.43:
	v_xor_b32_e32 v4, 0x80000000, v3
	v_mov_b32_e32 v5, v2
	v_pk_mul_f32 v[4:5], v[0:1], v[4:5] op_sel:[1,0]
	s_and_b64 vcc, exec, s[0:1]
	v_pk_fma_f32 v[0:1], v[2:3], v[0:1], v[4:5] op_sel_hi:[1,0,1]
	s_mov_b64 s[0:1], -1
	s_cbranch_vccnz .LBB28_45
; %bb.44:
	v_lshl_add_u64 v[2:3], v[6:7], 3, v[14:15]
	s_mov_b64 s[0:1], 0
	global_store_dwordx2 v[2:3], v[0:1], off
.LBB28_45:
	s_andn2_b64 vcc, exec, s[0:1]
	s_cbranch_vccnz .LBB28_47
; %bb.46:
	v_mul_lo_u32 v4, s3, v6
	v_mul_lo_u32 v5, s2, v7
	v_mad_u64_u32 v[2:3], s[0:1], s2, v6, 0
	v_add3_u32 v3, v3, v5, v4
	v_lshl_add_u64 v[2:3], v[2:3], 3, v[12:13]
	global_store_dwordx2 v[2:3], v[0:1], off
.LBB28_47:
	s_endpgm
	.section	.rodata,"a",@progbits
	.p2align	6, 0x0
	.amdhsa_kernel _ZN9rocsparseL31bsrmm_large_blockdim_kernel_extILj8ELj8ELj2Eli21rocsparse_complex_numIfES2_S2_S2_EEvb20rocsparse_direction_T3_S4_llNS_24const_host_device_scalarIT7_EEPKT2_PKS4_PKT4_S4_PKT5_llS7_PT6_ll16rocsparse_order_21rocsparse_index_base_b
		.amdhsa_group_segment_fixed_size 1536
		.amdhsa_private_segment_fixed_size 0
		.amdhsa_kernarg_size 140
		.amdhsa_user_sgpr_count 2
		.amdhsa_user_sgpr_dispatch_ptr 0
		.amdhsa_user_sgpr_queue_ptr 0
		.amdhsa_user_sgpr_kernarg_segment_ptr 1
		.amdhsa_user_sgpr_dispatch_id 0
		.amdhsa_user_sgpr_kernarg_preload_length 0
		.amdhsa_user_sgpr_kernarg_preload_offset 0
		.amdhsa_user_sgpr_private_segment_size 0
		.amdhsa_uses_dynamic_stack 0
		.amdhsa_enable_private_segment 0
		.amdhsa_system_sgpr_workgroup_id_x 1
		.amdhsa_system_sgpr_workgroup_id_y 1
		.amdhsa_system_sgpr_workgroup_id_z 0
		.amdhsa_system_sgpr_workgroup_info 0
		.amdhsa_system_vgpr_workitem_id 1
		.amdhsa_next_free_vgpr 32
		.amdhsa_next_free_sgpr 40
		.amdhsa_accum_offset 32
		.amdhsa_reserve_vcc 1
		.amdhsa_float_round_mode_32 0
		.amdhsa_float_round_mode_16_64 0
		.amdhsa_float_denorm_mode_32 3
		.amdhsa_float_denorm_mode_16_64 3
		.amdhsa_dx10_clamp 1
		.amdhsa_ieee_mode 1
		.amdhsa_fp16_overflow 0
		.amdhsa_tg_split 0
		.amdhsa_exception_fp_ieee_invalid_op 0
		.amdhsa_exception_fp_denorm_src 0
		.amdhsa_exception_fp_ieee_div_zero 0
		.amdhsa_exception_fp_ieee_overflow 0
		.amdhsa_exception_fp_ieee_underflow 0
		.amdhsa_exception_fp_ieee_inexact 0
		.amdhsa_exception_int_div_zero 0
	.end_amdhsa_kernel
	.section	.text._ZN9rocsparseL31bsrmm_large_blockdim_kernel_extILj8ELj8ELj2Eli21rocsparse_complex_numIfES2_S2_S2_EEvb20rocsparse_direction_T3_S4_llNS_24const_host_device_scalarIT7_EEPKT2_PKS4_PKT4_S4_PKT5_llS7_PT6_ll16rocsparse_order_21rocsparse_index_base_b,"axG",@progbits,_ZN9rocsparseL31bsrmm_large_blockdim_kernel_extILj8ELj8ELj2Eli21rocsparse_complex_numIfES2_S2_S2_EEvb20rocsparse_direction_T3_S4_llNS_24const_host_device_scalarIT7_EEPKT2_PKS4_PKT4_S4_PKT5_llS7_PT6_ll16rocsparse_order_21rocsparse_index_base_b,comdat
.Lfunc_end28:
	.size	_ZN9rocsparseL31bsrmm_large_blockdim_kernel_extILj8ELj8ELj2Eli21rocsparse_complex_numIfES2_S2_S2_EEvb20rocsparse_direction_T3_S4_llNS_24const_host_device_scalarIT7_EEPKT2_PKS4_PKT4_S4_PKT5_llS7_PT6_ll16rocsparse_order_21rocsparse_index_base_b, .Lfunc_end28-_ZN9rocsparseL31bsrmm_large_blockdim_kernel_extILj8ELj8ELj2Eli21rocsparse_complex_numIfES2_S2_S2_EEvb20rocsparse_direction_T3_S4_llNS_24const_host_device_scalarIT7_EEPKT2_PKS4_PKT4_S4_PKT5_llS7_PT6_ll16rocsparse_order_21rocsparse_index_base_b
                                        ; -- End function
	.set _ZN9rocsparseL31bsrmm_large_blockdim_kernel_extILj8ELj8ELj2Eli21rocsparse_complex_numIfES2_S2_S2_EEvb20rocsparse_direction_T3_S4_llNS_24const_host_device_scalarIT7_EEPKT2_PKS4_PKT4_S4_PKT5_llS7_PT6_ll16rocsparse_order_21rocsparse_index_base_b.num_vgpr, 32
	.set _ZN9rocsparseL31bsrmm_large_blockdim_kernel_extILj8ELj8ELj2Eli21rocsparse_complex_numIfES2_S2_S2_EEvb20rocsparse_direction_T3_S4_llNS_24const_host_device_scalarIT7_EEPKT2_PKS4_PKT4_S4_PKT5_llS7_PT6_ll16rocsparse_order_21rocsparse_index_base_b.num_agpr, 0
	.set _ZN9rocsparseL31bsrmm_large_blockdim_kernel_extILj8ELj8ELj2Eli21rocsparse_complex_numIfES2_S2_S2_EEvb20rocsparse_direction_T3_S4_llNS_24const_host_device_scalarIT7_EEPKT2_PKS4_PKT4_S4_PKT5_llS7_PT6_ll16rocsparse_order_21rocsparse_index_base_b.numbered_sgpr, 40
	.set _ZN9rocsparseL31bsrmm_large_blockdim_kernel_extILj8ELj8ELj2Eli21rocsparse_complex_numIfES2_S2_S2_EEvb20rocsparse_direction_T3_S4_llNS_24const_host_device_scalarIT7_EEPKT2_PKS4_PKT4_S4_PKT5_llS7_PT6_ll16rocsparse_order_21rocsparse_index_base_b.num_named_barrier, 0
	.set _ZN9rocsparseL31bsrmm_large_blockdim_kernel_extILj8ELj8ELj2Eli21rocsparse_complex_numIfES2_S2_S2_EEvb20rocsparse_direction_T3_S4_llNS_24const_host_device_scalarIT7_EEPKT2_PKS4_PKT4_S4_PKT5_llS7_PT6_ll16rocsparse_order_21rocsparse_index_base_b.private_seg_size, 0
	.set _ZN9rocsparseL31bsrmm_large_blockdim_kernel_extILj8ELj8ELj2Eli21rocsparse_complex_numIfES2_S2_S2_EEvb20rocsparse_direction_T3_S4_llNS_24const_host_device_scalarIT7_EEPKT2_PKS4_PKT4_S4_PKT5_llS7_PT6_ll16rocsparse_order_21rocsparse_index_base_b.uses_vcc, 1
	.set _ZN9rocsparseL31bsrmm_large_blockdim_kernel_extILj8ELj8ELj2Eli21rocsparse_complex_numIfES2_S2_S2_EEvb20rocsparse_direction_T3_S4_llNS_24const_host_device_scalarIT7_EEPKT2_PKS4_PKT4_S4_PKT5_llS7_PT6_ll16rocsparse_order_21rocsparse_index_base_b.uses_flat_scratch, 0
	.set _ZN9rocsparseL31bsrmm_large_blockdim_kernel_extILj8ELj8ELj2Eli21rocsparse_complex_numIfES2_S2_S2_EEvb20rocsparse_direction_T3_S4_llNS_24const_host_device_scalarIT7_EEPKT2_PKS4_PKT4_S4_PKT5_llS7_PT6_ll16rocsparse_order_21rocsparse_index_base_b.has_dyn_sized_stack, 0
	.set _ZN9rocsparseL31bsrmm_large_blockdim_kernel_extILj8ELj8ELj2Eli21rocsparse_complex_numIfES2_S2_S2_EEvb20rocsparse_direction_T3_S4_llNS_24const_host_device_scalarIT7_EEPKT2_PKS4_PKT4_S4_PKT5_llS7_PT6_ll16rocsparse_order_21rocsparse_index_base_b.has_recursion, 0
	.set _ZN9rocsparseL31bsrmm_large_blockdim_kernel_extILj8ELj8ELj2Eli21rocsparse_complex_numIfES2_S2_S2_EEvb20rocsparse_direction_T3_S4_llNS_24const_host_device_scalarIT7_EEPKT2_PKS4_PKT4_S4_PKT5_llS7_PT6_ll16rocsparse_order_21rocsparse_index_base_b.has_indirect_call, 0
	.section	.AMDGPU.csdata,"",@progbits
; Kernel info:
; codeLenInByte = 2032
; TotalNumSgprs: 46
; NumVgprs: 32
; NumAgprs: 0
; TotalNumVgprs: 32
; ScratchSize: 0
; MemoryBound: 0
; FloatMode: 240
; IeeeMode: 1
; LDSByteSize: 1536 bytes/workgroup (compile time only)
; SGPRBlocks: 5
; VGPRBlocks: 3
; NumSGPRsForWavesPerEU: 46
; NumVGPRsForWavesPerEU: 32
; AccumOffset: 32
; Occupancy: 8
; WaveLimiterHint : 1
; COMPUTE_PGM_RSRC2:SCRATCH_EN: 0
; COMPUTE_PGM_RSRC2:USER_SGPR: 2
; COMPUTE_PGM_RSRC2:TRAP_HANDLER: 0
; COMPUTE_PGM_RSRC2:TGID_X_EN: 1
; COMPUTE_PGM_RSRC2:TGID_Y_EN: 1
; COMPUTE_PGM_RSRC2:TGID_Z_EN: 0
; COMPUTE_PGM_RSRC2:TIDIG_COMP_CNT: 1
; COMPUTE_PGM_RSRC3_GFX90A:ACCUM_OFFSET: 7
; COMPUTE_PGM_RSRC3_GFX90A:TG_SPLIT: 0
	.section	.text._ZN9rocsparseL31bsrmm_large_blockdim_kernel_extILj4ELj16ELj2Eli21rocsparse_complex_numIfES2_S2_S2_EEvb20rocsparse_direction_T3_S4_llNS_24const_host_device_scalarIT7_EEPKT2_PKS4_PKT4_S4_PKT5_llS7_PT6_ll16rocsparse_order_21rocsparse_index_base_b,"axG",@progbits,_ZN9rocsparseL31bsrmm_large_blockdim_kernel_extILj4ELj16ELj2Eli21rocsparse_complex_numIfES2_S2_S2_EEvb20rocsparse_direction_T3_S4_llNS_24const_host_device_scalarIT7_EEPKT2_PKS4_PKT4_S4_PKT5_llS7_PT6_ll16rocsparse_order_21rocsparse_index_base_b,comdat
	.globl	_ZN9rocsparseL31bsrmm_large_blockdim_kernel_extILj4ELj16ELj2Eli21rocsparse_complex_numIfES2_S2_S2_EEvb20rocsparse_direction_T3_S4_llNS_24const_host_device_scalarIT7_EEPKT2_PKS4_PKT4_S4_PKT5_llS7_PT6_ll16rocsparse_order_21rocsparse_index_base_b ; -- Begin function _ZN9rocsparseL31bsrmm_large_blockdim_kernel_extILj4ELj16ELj2Eli21rocsparse_complex_numIfES2_S2_S2_EEvb20rocsparse_direction_T3_S4_llNS_24const_host_device_scalarIT7_EEPKT2_PKS4_PKT4_S4_PKT5_llS7_PT6_ll16rocsparse_order_21rocsparse_index_base_b
	.p2align	8
	.type	_ZN9rocsparseL31bsrmm_large_blockdim_kernel_extILj4ELj16ELj2Eli21rocsparse_complex_numIfES2_S2_S2_EEvb20rocsparse_direction_T3_S4_llNS_24const_host_device_scalarIT7_EEPKT2_PKS4_PKT4_S4_PKT5_llS7_PT6_ll16rocsparse_order_21rocsparse_index_base_b,@function
_ZN9rocsparseL31bsrmm_large_blockdim_kernel_extILj4ELj16ELj2Eli21rocsparse_complex_numIfES2_S2_S2_EEvb20rocsparse_direction_T3_S4_llNS_24const_host_device_scalarIT7_EEPKT2_PKS4_PKT4_S4_PKT5_llS7_PT6_ll16rocsparse_order_21rocsparse_index_base_b: ; @_ZN9rocsparseL31bsrmm_large_blockdim_kernel_extILj4ELj16ELj2Eli21rocsparse_complex_numIfES2_S2_S2_EEvb20rocsparse_direction_T3_S4_llNS_24const_host_device_scalarIT7_EEPKT2_PKS4_PKT4_S4_PKT5_llS7_PT6_ll16rocsparse_order_21rocsparse_index_base_b
; %bb.0:
	s_load_dwordx2 s[4:5], s[0:1], 0x20
	s_load_dwordx4 s[20:23], s[0:1], 0x80
	s_mov_b32 s6, s3
	s_add_u32 s3, s0, 32
	s_addc_u32 s7, s1, 0
	s_load_dwordx2 s[8:9], s[0:1], 0x60
	s_add_u32 s10, s0, 0x60
	s_addc_u32 s11, s1, 0
	s_waitcnt lgkmcnt(0)
	s_bitcmp1_b32 s22, 0
	s_cselect_b32 s3, s3, s4
	s_cselect_b32 s5, s7, s5
	v_mov_b32_e32 v2, s3
	s_cselect_b32 s3, s11, s9
	s_cselect_b32 s4, s10, s8
	v_mov_b32_e32 v3, s5
	v_mov_b32_e32 v4, s4
	;; [unrolled: 1-line block ×3, first 2 shown]
	flat_load_dwordx2 v[2:3], v[2:3]
	s_waitcnt vmcnt(0) lgkmcnt(0)
	v_cmp_eq_f32_e32 vcc, 0, v2
	flat_load_dwordx2 v[4:5], v[4:5]
	v_cmp_eq_f32_e64 s[8:9], 0, v3
	s_and_b64 s[8:9], vcc, s[8:9]
	s_waitcnt vmcnt(0) lgkmcnt(0)
	v_cmp_eq_f32_e64 s[10:11], 1.0, v4
	v_cmp_eq_f32_e64 s[4:5], 0, v5
	s_and_b64 s[10:11], s[10:11], s[4:5]
	s_and_b64 s[8:9], s[8:9], s[10:11]
	s_xor_b64 s[8:9], s[8:9], -1
	s_and_saveexec_b64 s[10:11], s[8:9]
	s_cbranch_execz .LBB29_47
; %bb.1:
	s_load_dwordx4 s[16:19], s[0:1], 0x0
	s_load_dwordx2 s[8:9], s[0:1], 0x28
	s_mov_b64 s[34:35], 0
	s_mov_b64 s[36:37], 0
	s_waitcnt lgkmcnt(0)
	s_cmp_lt_i32 s2, s18
	s_cselect_b64 s[14:15], -1, 0
	s_cmp_ge_i32 s2, s18
	s_cbranch_scc1 .LBB29_3
; %bb.2:
	s_ashr_i32 s3, s2, 31
	s_lshl_b64 s[10:11], s[2:3], 3
	s_add_u32 s10, s8, s10
	s_addc_u32 s11, s9, s11
	s_load_dwordx2 s[10:11], s[10:11], 0x0
	s_waitcnt lgkmcnt(0)
	s_sub_u32 s36, s10, s21
	s_subb_u32 s37, s11, 0
.LBB29_3:
	s_andn2_b64 vcc, exec, s[14:15]
	s_cbranch_vccnz .LBB29_5
; %bb.4:
	s_ashr_i32 s3, s2, 31
	s_lshl_b64 s[10:11], s[2:3], 3
	s_add_u32 s8, s8, s10
	s_addc_u32 s9, s9, s11
	s_load_dwordx2 s[8:9], s[8:9], 0x8
	s_waitcnt lgkmcnt(0)
	s_sub_u32 s34, s8, s21
	s_subb_u32 s35, s9, 0
.LBB29_5:
	s_load_dwordx2 s[22:23], s[0:1], 0x68
	s_load_dword s3, s[0:1], 0x40
	v_bfe_u32 v1, v0, 10, 10
	v_lshl_add_u32 v8, s6, 5, v1
	v_mov_b64_e32 v[10:11], s[34:35]
	v_add_u32_e32 v6, 16, v8
	v_and_b32_e32 v22, 0x3ff, v0
	v_cmp_ge_i64_e32 vcc, s[36:37], v[10:11]
	s_waitcnt lgkmcnt(0)
	v_cmp_gt_i32_e64 s[6:7], s3, v22
	v_cmp_gt_i32_e64 s[8:9], s19, v8
	v_cmp_gt_i32_e64 s[10:11], s19, v6
	s_cbranch_vccnz .LBB29_23
; %bb.6:
	s_load_dwordx4 s[24:27], s[0:1], 0x30
	s_load_dwordx4 s[28:31], s[0:1], 0x48
	v_cmp_gt_i32_e32 vcc, s3, v1
	v_mul_lo_u32 v10, s3, v1
	v_mov_b32_e32 v11, 0
	s_and_b64 s[38:39], s[6:7], vcc
	v_lshlrev_b32_e32 v18, 3, v22
	s_waitcnt lgkmcnt(0)
	v_lshl_add_u64 v[12:13], v[10:11], 3, s[26:27]
	v_mov_b32_e32 v19, v11
	v_mul_lo_u32 v10, s3, v22
	s_bitcmp1_b32 s16, 0
	v_lshlrev_b32_e32 v0, 3, v1
	v_lshlrev_b32_e32 v23, 5, v1
	v_lshl_add_u64 v[16:17], v[12:13], 0, v[18:19]
	v_lshl_add_u64 v[12:13], v[10:11], 3, s[26:27]
	v_mov_b32_e32 v1, v11
	v_ashrrev_i32_e32 v9, 31, v8
	s_cselect_b64 s[12:13], -1, 0
	v_add_u32_e32 v20, 0x400, v0
	s_cmp_eq_u32 s17, 0
	v_lshl_add_u64 v[0:1], v[12:13], 0, v[0:1]
	v_mul_lo_u32 v7, s31, v8
	v_mul_lo_u32 v10, s30, v9
	v_mad_u64_u32 v[12:13], s[16:17], s30, v8, 0
	v_add3_u32 v13, v13, v10, v7
	v_ashrrev_i32_e32 v7, 31, v6
	v_mul_lo_u32 v10, s31, v6
	v_mul_lo_u32 v21, s30, v7
	v_mad_u64_u32 v[14:15], s[16:17], s30, v6, 0
	v_lshlrev_b32_e32 v19, 5, v22
	v_add3_u32 v15, v15, v21, v10
	s_cselect_b64 vcc, -1, 0
	v_mov_b32_e32 v10, v11
	s_mul_i32 s18, s3, s3
	v_cndmask_b32_e32 v17, v17, v1, vcc
	v_cndmask_b32_e32 v16, v16, v0, vcc
	v_add_u32_e32 v24, 0x400, v19
	v_add_u32_e32 v25, 0x200, v23
	;; [unrolled: 1-line block ×4, first 2 shown]
	v_mov_b64_e32 v[0:1], v[10:11]
	s_branch .LBB29_9
.LBB29_7:                               ;   in Loop: Header=BB29_9 Depth=1
	s_or_b64 exec, exec, s[26:27]
.LBB29_8:                               ;   in Loop: Header=BB29_9 Depth=1
	s_or_b64 exec, exec, s[16:17]
	s_add_u32 s36, s36, 1
	s_addc_u32 s37, s37, 0
	v_mov_b64_e32 v[18:19], s[34:35]
	v_cmp_ge_i64_e32 vcc, s[36:37], v[18:19]
	; wave barrier
	s_cbranch_vccnz .LBB29_24
.LBB29_9:                               ; =>This Loop Header: Depth=1
                                        ;     Child Loop BB29_19 Depth 2
                                        ;     Child Loop BB29_22 Depth 2
	s_and_saveexec_b64 s[16:17], s[6:7]
	s_cbranch_execz .LBB29_14
; %bb.10:                               ;   in Loop: Header=BB29_9 Depth=1
	s_lshl_b64 s[26:27], s[36:37], 2
	s_add_u32 s26, s24, s26
	s_addc_u32 s27, s25, s27
	s_load_dword s26, s[26:27], 0x0
	s_waitcnt lgkmcnt(0)
	s_sub_i32 s26, s26, s21
	s_mul_i32 s26, s26, s3
	v_add_u32_e32 v20, s26, v22
	v_ashrrev_i32_e32 v21, 31, v20
	v_mul_lo_u32 v28, s31, v20
	v_mad_u64_u32 v[18:19], s[26:27], s30, v20, 0
	v_mul_lo_u32 v29, s30, v21
	v_add3_u32 v19, v19, v29, v28
	v_lshl_add_u64 v[18:19], v[18:19], 3, s[28:29]
	v_lshl_add_u64 v[20:21], v[20:21], 3, s[28:29]
	s_and_saveexec_b64 s[26:27], s[8:9]
	s_cbranch_execz .LBB29_12
; %bb.11:                               ;   in Loop: Header=BB29_9 Depth=1
	v_lshl_add_u64 v[28:29], v[8:9], 3, v[18:19]
	v_lshl_add_u64 v[30:31], v[12:13], 3, v[20:21]
	v_cndmask_b32_e64 v29, v29, v31, s[12:13]
	v_cndmask_b32_e64 v28, v28, v30, s[12:13]
	global_load_dwordx2 v[28:29], v[28:29], off
	s_waitcnt vmcnt(0)
	ds_write_b64 v27, v[28:29]
.LBB29_12:                              ;   in Loop: Header=BB29_9 Depth=1
	s_or_b64 exec, exec, s[26:27]
	s_and_b64 exec, exec, s[10:11]
	s_cbranch_execz .LBB29_14
; %bb.13:                               ;   in Loop: Header=BB29_9 Depth=1
	v_lshl_add_u64 v[20:21], v[14:15], 3, v[20:21]
	v_lshl_add_u64 v[18:19], v[6:7], 3, v[18:19]
	v_cndmask_b32_e64 v19, v19, v21, s[12:13]
	v_cndmask_b32_e64 v18, v18, v20, s[12:13]
	global_load_dwordx2 v[18:19], v[18:19], off
	s_waitcnt vmcnt(0)
	ds_write_b64 v27, v[18:19] offset:512
.LBB29_14:                              ;   in Loop: Header=BB29_9 Depth=1
	s_or_b64 exec, exec, s[16:17]
	s_and_saveexec_b64 s[16:17], s[38:39]
	s_cbranch_execz .LBB29_16
; %bb.15:                               ;   in Loop: Header=BB29_9 Depth=1
	s_mul_i32 s26, s37, s18
	s_mul_hi_u32 s27, s36, s18
	s_add_i32 s27, s27, s26
	s_mul_i32 s26, s36, s18
	v_lshl_add_u64 v[18:19], s[26:27], 3, v[16:17]
	global_load_dwordx2 v[18:19], v[18:19], off
	s_waitcnt vmcnt(0)
	ds_write_b64 v26, v[18:19]
.LBB29_16:                              ;   in Loop: Header=BB29_9 Depth=1
	s_or_b64 exec, exec, s[16:17]
	s_waitcnt lgkmcnt(0)
	; wave barrier
	s_and_saveexec_b64 s[16:17], s[6:7]
	s_cbranch_execz .LBB29_8
; %bb.17:                               ;   in Loop: Header=BB29_9 Depth=1
	s_and_saveexec_b64 s[26:27], s[8:9]
	s_cbranch_execz .LBB29_20
; %bb.18:                               ;   in Loop: Header=BB29_9 Depth=1
	v_mov_b32_e32 v18, v24
	v_mov_b32_e32 v19, v23
	s_mov_b32 s33, s3
.LBB29_19:                              ;   Parent Loop BB29_9 Depth=1
                                        ; =>  This Inner Loop Header: Depth=2
	ds_read_b64 v[20:21], v19
	ds_read_b64 v[28:29], v18
	s_add_i32 s33, s33, -1
	v_add_u32_e32 v19, 8, v19
	v_add_u32_e32 v18, 8, v18
	s_cmp_lg_u32 s33, 0
	s_waitcnt lgkmcnt(0)
	v_xor_b32_e32 v30, 0x80000000, v29
	v_pk_fma_f32 v[10:11], v[28:29], v[20:21], v[10:11] op_sel_hi:[1,0,1]
	v_mov_b32_e32 v31, v28
	v_pk_fma_f32 v[10:11], v[30:31], v[20:21], v[10:11] op_sel:[0,1,0]
	s_cbranch_scc1 .LBB29_19
.LBB29_20:                              ;   in Loop: Header=BB29_9 Depth=1
	s_or_b64 exec, exec, s[26:27]
	s_and_saveexec_b64 s[26:27], s[10:11]
	s_cbranch_execz .LBB29_7
; %bb.21:                               ;   in Loop: Header=BB29_9 Depth=1
	v_mov_b32_e32 v18, v24
	s_mov_b32 s33, s3
	v_mov_b32_e32 v19, v25
.LBB29_22:                              ;   Parent Loop BB29_9 Depth=1
                                        ; =>  This Inner Loop Header: Depth=2
	ds_read_b64 v[20:21], v19
	ds_read_b64 v[28:29], v18
	s_add_i32 s33, s33, -1
	v_add_u32_e32 v19, 8, v19
	v_add_u32_e32 v18, 8, v18
	s_cmp_lg_u32 s33, 0
	s_waitcnt lgkmcnt(0)
	v_xor_b32_e32 v30, 0x80000000, v29
	v_pk_fma_f32 v[0:1], v[28:29], v[20:21], v[0:1] op_sel_hi:[1,0,1]
	v_mov_b32_e32 v31, v28
	v_pk_fma_f32 v[0:1], v[30:31], v[20:21], v[0:1] op_sel:[0,1,0]
	s_cbranch_scc1 .LBB29_22
	s_branch .LBB29_7
.LBB29_23:
	v_mov_b32_e32 v0, 0
	v_mov_b32_e32 v1, v0
	v_mov_b64_e32 v[10:11], v[0:1]
.LBB29_24:
	s_and_b64 s[6:7], s[14:15], s[6:7]
	s_and_b64 exec, exec, s[6:7]
	s_cbranch_execz .LBB29_47
; %bb.25:
	s_mul_i32 s2, s3, s2
	v_add_u32_e32 v12, s2, v22
	s_load_dwordx2 s[2:3], s[0:1], 0x70
	v_cmp_neq_f32_e32 vcc, 0, v4
	s_xor_b64 s[0:1], s[4:5], -1
	v_ashrrev_i32_e32 v13, 31, v12
	s_or_b64 s[4:5], vcc, s[0:1]
	s_waitcnt lgkmcnt(0)
	v_mul_lo_u32 v7, s2, v13
	v_mul_lo_u32 v9, s3, v12
	v_mad_u64_u32 v[14:15], s[6:7], s2, v12, 0
	s_cmp_lg_u32 s20, 1
	v_add3_u32 v15, v15, v7, v9
	s_cselect_b64 s[0:1], -1, 0
	v_lshl_add_u64 v[14:15], v[14:15], 3, s[22:23]
	v_lshl_add_u64 v[12:13], v[12:13], 3, s[22:23]
	v_cmp_gt_i32_e32 vcc, s19, v8
	s_and_saveexec_b64 s[6:7], vcc
	s_cbranch_execz .LBB29_36
; %bb.26:
	v_ashrrev_i32_e32 v9, 31, v8
	s_and_saveexec_b64 s[8:9], s[4:5]
	s_xor_b64 s[8:9], exec, s[8:9]
	s_cbranch_execz .LBB29_31
; %bb.27:
	s_mov_b64 s[10:11], -1
	s_and_b64 vcc, exec, s[0:1]
	s_cbranch_vccz .LBB29_29
; %bb.28:
	v_lshl_add_u64 v[16:17], v[8:9], 3, v[14:15]
	global_load_dwordx2 v[18:19], v[16:17], off
	v_xor_b32_e32 v20, 0x80000000, v3
	v_mov_b32_e32 v21, v2
	v_pk_mul_f32 v[20:21], v[10:11], v[20:21] op_sel:[1,0]
	v_xor_b32_e32 v22, 0x80000000, v5
	v_pk_fma_f32 v[20:21], v[2:3], v[10:11], v[20:21] op_sel_hi:[1,0,1]
	v_mov_b32_e32 v23, v4
	s_mov_b64 s[10:11], 0
	s_waitcnt vmcnt(0)
	v_pk_fma_f32 v[20:21], v[4:5], v[18:19], v[20:21] op_sel_hi:[1,0,1]
	s_nop 0
	v_pk_fma_f32 v[18:19], v[22:23], v[18:19], v[20:21] op_sel:[0,1,0]
	global_store_dwordx2 v[16:17], v[18:19], off
.LBB29_29:
	s_andn2_b64 vcc, exec, s[10:11]
	s_cbranch_vccnz .LBB29_31
; %bb.30:
	v_mul_lo_u32 v7, s3, v8
	v_mul_lo_u32 v16, s2, v9
	v_mad_u64_u32 v[8:9], s[10:11], s2, v8, 0
	v_add3_u32 v9, v9, v16, v7
	v_lshl_add_u64 v[8:9], v[8:9], 3, v[12:13]
	global_load_dwordx2 v[16:17], v[8:9], off
	v_xor_b32_e32 v18, 0x80000000, v3
	v_mov_b32_e32 v19, v2
	v_pk_mul_f32 v[18:19], v[10:11], v[18:19] op_sel:[1,0]
	v_xor_b32_e32 v20, 0x80000000, v5
	v_pk_fma_f32 v[10:11], v[2:3], v[10:11], v[18:19] op_sel_hi:[1,0,1]
	v_mov_b32_e32 v21, v4
	s_waitcnt vmcnt(0)
	v_pk_fma_f32 v[10:11], v[4:5], v[16:17], v[10:11] op_sel_hi:[1,0,1]
	s_nop 0
	v_pk_fma_f32 v[10:11], v[20:21], v[16:17], v[10:11] op_sel:[0,1,0]
	global_store_dwordx2 v[8:9], v[10:11], off
                                        ; implicit-def: $vgpr10_vgpr11
                                        ; implicit-def: $vgpr8
.LBB29_31:
	s_andn2_saveexec_b64 s[8:9], s[8:9]
	s_cbranch_execz .LBB29_36
; %bb.32:
	v_xor_b32_e32 v16, 0x80000000, v3
	v_mov_b32_e32 v17, v2
	v_pk_mul_f32 v[16:17], v[10:11], v[16:17] op_sel:[1,0]
	s_mov_b64 s[8:9], -1
	v_pk_fma_f32 v[10:11], v[2:3], v[10:11], v[16:17] op_sel_hi:[1,0,1]
	s_and_b64 vcc, exec, s[0:1]
	s_cbranch_vccz .LBB29_34
; %bb.33:
	v_lshl_add_u64 v[16:17], v[8:9], 3, v[14:15]
	global_store_dwordx2 v[16:17], v[10:11], off
	s_mov_b64 s[8:9], 0
.LBB29_34:
	s_andn2_b64 vcc, exec, s[8:9]
	s_cbranch_vccnz .LBB29_36
; %bb.35:
	v_mul_lo_u32 v7, s3, v8
	v_mul_lo_u32 v16, s2, v9
	v_mad_u64_u32 v[8:9], s[8:9], s2, v8, 0
	v_add3_u32 v9, v9, v16, v7
	v_lshl_add_u64 v[8:9], v[8:9], 3, v[12:13]
	global_store_dwordx2 v[8:9], v[10:11], off
.LBB29_36:
	s_or_b64 exec, exec, s[6:7]
	v_cmp_gt_i32_e32 vcc, s19, v6
	s_and_b64 exec, exec, vcc
	s_cbranch_execz .LBB29_47
; %bb.37:
	v_cndmask_b32_e64 v8, 0, 1, s[0:1]
	v_ashrrev_i32_e32 v7, 31, v6
	v_cmp_ne_u32_e64 s[0:1], 1, v8
	s_and_saveexec_b64 s[6:7], s[4:5]
	s_xor_b64 s[4:5], exec, s[6:7]
	s_cbranch_execz .LBB29_42
; %bb.38:
	s_and_b64 vcc, exec, s[0:1]
	s_mov_b64 s[6:7], -1
	s_cbranch_vccnz .LBB29_40
; %bb.39:
	v_lshl_add_u64 v[8:9], v[6:7], 3, v[14:15]
	global_load_dwordx2 v[10:11], v[8:9], off
	v_xor_b32_e32 v14, 0x80000000, v3
	v_mov_b32_e32 v15, v2
	v_pk_mul_f32 v[14:15], v[0:1], v[14:15] op_sel:[1,0]
	v_xor_b32_e32 v16, 0x80000000, v5
	v_pk_fma_f32 v[14:15], v[2:3], v[0:1], v[14:15] op_sel_hi:[1,0,1]
	v_mov_b32_e32 v17, v4
	s_mov_b64 s[6:7], 0
	s_waitcnt vmcnt(0)
	v_pk_fma_f32 v[14:15], v[4:5], v[10:11], v[14:15] op_sel_hi:[1,0,1]
	s_nop 0
	v_pk_fma_f32 v[10:11], v[16:17], v[10:11], v[14:15] op_sel:[0,1,0]
	global_store_dwordx2 v[8:9], v[10:11], off
.LBB29_40:
	s_andn2_b64 vcc, exec, s[6:7]
                                        ; implicit-def: $vgpr14_vgpr15
	s_cbranch_vccnz .LBB29_42
; %bb.41:
	v_mul_lo_u32 v8, s3, v6
	v_mul_lo_u32 v9, s2, v7
	v_mad_u64_u32 v[6:7], s[6:7], s2, v6, 0
	v_add3_u32 v7, v7, v9, v8
	v_lshl_add_u64 v[6:7], v[6:7], 3, v[12:13]
	global_load_dwordx2 v[8:9], v[6:7], off
	v_xor_b32_e32 v10, 0x80000000, v3
	v_mov_b32_e32 v11, v2
	v_pk_mul_f32 v[10:11], v[0:1], v[10:11] op_sel:[1,0]
	v_xor_b32_e32 v12, 0x80000000, v5
	v_pk_fma_f32 v[0:1], v[2:3], v[0:1], v[10:11] op_sel_hi:[1,0,1]
	v_mov_b32_e32 v13, v4
                                        ; implicit-def: $vgpr2_vgpr3
                                        ; implicit-def: $vgpr14_vgpr15
	s_waitcnt vmcnt(0)
	v_pk_fma_f32 v[0:1], v[4:5], v[8:9], v[0:1] op_sel_hi:[1,0,1]
	s_nop 0
	v_pk_fma_f32 v[0:1], v[12:13], v[8:9], v[0:1] op_sel:[0,1,0]
	global_store_dwordx2 v[6:7], v[0:1], off
                                        ; implicit-def: $vgpr12_vgpr13
                                        ; implicit-def: $vgpr0_vgpr1
                                        ; implicit-def: $vgpr6
.LBB29_42:
	s_andn2_saveexec_b64 s[4:5], s[4:5]
	s_cbranch_execz .LBB29_47
; %bb.43:
	v_xor_b32_e32 v4, 0x80000000, v3
	v_mov_b32_e32 v5, v2
	v_pk_mul_f32 v[4:5], v[0:1], v[4:5] op_sel:[1,0]
	s_and_b64 vcc, exec, s[0:1]
	v_pk_fma_f32 v[0:1], v[2:3], v[0:1], v[4:5] op_sel_hi:[1,0,1]
	s_mov_b64 s[0:1], -1
	s_cbranch_vccnz .LBB29_45
; %bb.44:
	v_lshl_add_u64 v[2:3], v[6:7], 3, v[14:15]
	s_mov_b64 s[0:1], 0
	global_store_dwordx2 v[2:3], v[0:1], off
.LBB29_45:
	s_andn2_b64 vcc, exec, s[0:1]
	s_cbranch_vccnz .LBB29_47
; %bb.46:
	v_mul_lo_u32 v4, s3, v6
	v_mul_lo_u32 v5, s2, v7
	v_mad_u64_u32 v[2:3], s[0:1], s2, v6, 0
	v_add3_u32 v3, v3, v5, v4
	v_lshl_add_u64 v[2:3], v[2:3], 3, v[12:13]
	global_store_dwordx2 v[2:3], v[0:1], off
.LBB29_47:
	s_endpgm
	.section	.rodata,"a",@progbits
	.p2align	6, 0x0
	.amdhsa_kernel _ZN9rocsparseL31bsrmm_large_blockdim_kernel_extILj4ELj16ELj2Eli21rocsparse_complex_numIfES2_S2_S2_EEvb20rocsparse_direction_T3_S4_llNS_24const_host_device_scalarIT7_EEPKT2_PKS4_PKT4_S4_PKT5_llS7_PT6_ll16rocsparse_order_21rocsparse_index_base_b
		.amdhsa_group_segment_fixed_size 1152
		.amdhsa_private_segment_fixed_size 0
		.amdhsa_kernarg_size 140
		.amdhsa_user_sgpr_count 2
		.amdhsa_user_sgpr_dispatch_ptr 0
		.amdhsa_user_sgpr_queue_ptr 0
		.amdhsa_user_sgpr_kernarg_segment_ptr 1
		.amdhsa_user_sgpr_dispatch_id 0
		.amdhsa_user_sgpr_kernarg_preload_length 0
		.amdhsa_user_sgpr_kernarg_preload_offset 0
		.amdhsa_user_sgpr_private_segment_size 0
		.amdhsa_uses_dynamic_stack 0
		.amdhsa_enable_private_segment 0
		.amdhsa_system_sgpr_workgroup_id_x 1
		.amdhsa_system_sgpr_workgroup_id_y 1
		.amdhsa_system_sgpr_workgroup_id_z 0
		.amdhsa_system_sgpr_workgroup_info 0
		.amdhsa_system_vgpr_workitem_id 1
		.amdhsa_next_free_vgpr 32
		.amdhsa_next_free_sgpr 40
		.amdhsa_accum_offset 32
		.amdhsa_reserve_vcc 1
		.amdhsa_float_round_mode_32 0
		.amdhsa_float_round_mode_16_64 0
		.amdhsa_float_denorm_mode_32 3
		.amdhsa_float_denorm_mode_16_64 3
		.amdhsa_dx10_clamp 1
		.amdhsa_ieee_mode 1
		.amdhsa_fp16_overflow 0
		.amdhsa_tg_split 0
		.amdhsa_exception_fp_ieee_invalid_op 0
		.amdhsa_exception_fp_denorm_src 0
		.amdhsa_exception_fp_ieee_div_zero 0
		.amdhsa_exception_fp_ieee_overflow 0
		.amdhsa_exception_fp_ieee_underflow 0
		.amdhsa_exception_fp_ieee_inexact 0
		.amdhsa_exception_int_div_zero 0
	.end_amdhsa_kernel
	.section	.text._ZN9rocsparseL31bsrmm_large_blockdim_kernel_extILj4ELj16ELj2Eli21rocsparse_complex_numIfES2_S2_S2_EEvb20rocsparse_direction_T3_S4_llNS_24const_host_device_scalarIT7_EEPKT2_PKS4_PKT4_S4_PKT5_llS7_PT6_ll16rocsparse_order_21rocsparse_index_base_b,"axG",@progbits,_ZN9rocsparseL31bsrmm_large_blockdim_kernel_extILj4ELj16ELj2Eli21rocsparse_complex_numIfES2_S2_S2_EEvb20rocsparse_direction_T3_S4_llNS_24const_host_device_scalarIT7_EEPKT2_PKS4_PKT4_S4_PKT5_llS7_PT6_ll16rocsparse_order_21rocsparse_index_base_b,comdat
.Lfunc_end29:
	.size	_ZN9rocsparseL31bsrmm_large_blockdim_kernel_extILj4ELj16ELj2Eli21rocsparse_complex_numIfES2_S2_S2_EEvb20rocsparse_direction_T3_S4_llNS_24const_host_device_scalarIT7_EEPKT2_PKS4_PKT4_S4_PKT5_llS7_PT6_ll16rocsparse_order_21rocsparse_index_base_b, .Lfunc_end29-_ZN9rocsparseL31bsrmm_large_blockdim_kernel_extILj4ELj16ELj2Eli21rocsparse_complex_numIfES2_S2_S2_EEvb20rocsparse_direction_T3_S4_llNS_24const_host_device_scalarIT7_EEPKT2_PKS4_PKT4_S4_PKT5_llS7_PT6_ll16rocsparse_order_21rocsparse_index_base_b
                                        ; -- End function
	.set _ZN9rocsparseL31bsrmm_large_blockdim_kernel_extILj4ELj16ELj2Eli21rocsparse_complex_numIfES2_S2_S2_EEvb20rocsparse_direction_T3_S4_llNS_24const_host_device_scalarIT7_EEPKT2_PKS4_PKT4_S4_PKT5_llS7_PT6_ll16rocsparse_order_21rocsparse_index_base_b.num_vgpr, 32
	.set _ZN9rocsparseL31bsrmm_large_blockdim_kernel_extILj4ELj16ELj2Eli21rocsparse_complex_numIfES2_S2_S2_EEvb20rocsparse_direction_T3_S4_llNS_24const_host_device_scalarIT7_EEPKT2_PKS4_PKT4_S4_PKT5_llS7_PT6_ll16rocsparse_order_21rocsparse_index_base_b.num_agpr, 0
	.set _ZN9rocsparseL31bsrmm_large_blockdim_kernel_extILj4ELj16ELj2Eli21rocsparse_complex_numIfES2_S2_S2_EEvb20rocsparse_direction_T3_S4_llNS_24const_host_device_scalarIT7_EEPKT2_PKS4_PKT4_S4_PKT5_llS7_PT6_ll16rocsparse_order_21rocsparse_index_base_b.numbered_sgpr, 40
	.set _ZN9rocsparseL31bsrmm_large_blockdim_kernel_extILj4ELj16ELj2Eli21rocsparse_complex_numIfES2_S2_S2_EEvb20rocsparse_direction_T3_S4_llNS_24const_host_device_scalarIT7_EEPKT2_PKS4_PKT4_S4_PKT5_llS7_PT6_ll16rocsparse_order_21rocsparse_index_base_b.num_named_barrier, 0
	.set _ZN9rocsparseL31bsrmm_large_blockdim_kernel_extILj4ELj16ELj2Eli21rocsparse_complex_numIfES2_S2_S2_EEvb20rocsparse_direction_T3_S4_llNS_24const_host_device_scalarIT7_EEPKT2_PKS4_PKT4_S4_PKT5_llS7_PT6_ll16rocsparse_order_21rocsparse_index_base_b.private_seg_size, 0
	.set _ZN9rocsparseL31bsrmm_large_blockdim_kernel_extILj4ELj16ELj2Eli21rocsparse_complex_numIfES2_S2_S2_EEvb20rocsparse_direction_T3_S4_llNS_24const_host_device_scalarIT7_EEPKT2_PKS4_PKT4_S4_PKT5_llS7_PT6_ll16rocsparse_order_21rocsparse_index_base_b.uses_vcc, 1
	.set _ZN9rocsparseL31bsrmm_large_blockdim_kernel_extILj4ELj16ELj2Eli21rocsparse_complex_numIfES2_S2_S2_EEvb20rocsparse_direction_T3_S4_llNS_24const_host_device_scalarIT7_EEPKT2_PKS4_PKT4_S4_PKT5_llS7_PT6_ll16rocsparse_order_21rocsparse_index_base_b.uses_flat_scratch, 0
	.set _ZN9rocsparseL31bsrmm_large_blockdim_kernel_extILj4ELj16ELj2Eli21rocsparse_complex_numIfES2_S2_S2_EEvb20rocsparse_direction_T3_S4_llNS_24const_host_device_scalarIT7_EEPKT2_PKS4_PKT4_S4_PKT5_llS7_PT6_ll16rocsparse_order_21rocsparse_index_base_b.has_dyn_sized_stack, 0
	.set _ZN9rocsparseL31bsrmm_large_blockdim_kernel_extILj4ELj16ELj2Eli21rocsparse_complex_numIfES2_S2_S2_EEvb20rocsparse_direction_T3_S4_llNS_24const_host_device_scalarIT7_EEPKT2_PKS4_PKT4_S4_PKT5_llS7_PT6_ll16rocsparse_order_21rocsparse_index_base_b.has_recursion, 0
	.set _ZN9rocsparseL31bsrmm_large_blockdim_kernel_extILj4ELj16ELj2Eli21rocsparse_complex_numIfES2_S2_S2_EEvb20rocsparse_direction_T3_S4_llNS_24const_host_device_scalarIT7_EEPKT2_PKS4_PKT4_S4_PKT5_llS7_PT6_ll16rocsparse_order_21rocsparse_index_base_b.has_indirect_call, 0
	.section	.AMDGPU.csdata,"",@progbits
; Kernel info:
; codeLenInByte = 2032
; TotalNumSgprs: 46
; NumVgprs: 32
; NumAgprs: 0
; TotalNumVgprs: 32
; ScratchSize: 0
; MemoryBound: 0
; FloatMode: 240
; IeeeMode: 1
; LDSByteSize: 1152 bytes/workgroup (compile time only)
; SGPRBlocks: 5
; VGPRBlocks: 3
; NumSGPRsForWavesPerEU: 46
; NumVGPRsForWavesPerEU: 32
; AccumOffset: 32
; Occupancy: 8
; WaveLimiterHint : 1
; COMPUTE_PGM_RSRC2:SCRATCH_EN: 0
; COMPUTE_PGM_RSRC2:USER_SGPR: 2
; COMPUTE_PGM_RSRC2:TRAP_HANDLER: 0
; COMPUTE_PGM_RSRC2:TGID_X_EN: 1
; COMPUTE_PGM_RSRC2:TGID_Y_EN: 1
; COMPUTE_PGM_RSRC2:TGID_Z_EN: 0
; COMPUTE_PGM_RSRC2:TIDIG_COMP_CNT: 1
; COMPUTE_PGM_RSRC3_GFX90A:ACCUM_OFFSET: 7
; COMPUTE_PGM_RSRC3_GFX90A:TG_SPLIT: 0
	.section	.text._ZN9rocsparseL31bsrmm_large_blockdim_kernel_extILj16ELj16ELj2Eli21rocsparse_complex_numIfES2_S2_S2_EEvb20rocsparse_direction_T3_S4_llNS_24const_host_device_scalarIT7_EEPKT2_PKS4_PKT4_S4_PKT5_llS7_PT6_ll16rocsparse_order_21rocsparse_index_base_b,"axG",@progbits,_ZN9rocsparseL31bsrmm_large_blockdim_kernel_extILj16ELj16ELj2Eli21rocsparse_complex_numIfES2_S2_S2_EEvb20rocsparse_direction_T3_S4_llNS_24const_host_device_scalarIT7_EEPKT2_PKS4_PKT4_S4_PKT5_llS7_PT6_ll16rocsparse_order_21rocsparse_index_base_b,comdat
	.globl	_ZN9rocsparseL31bsrmm_large_blockdim_kernel_extILj16ELj16ELj2Eli21rocsparse_complex_numIfES2_S2_S2_EEvb20rocsparse_direction_T3_S4_llNS_24const_host_device_scalarIT7_EEPKT2_PKS4_PKT4_S4_PKT5_llS7_PT6_ll16rocsparse_order_21rocsparse_index_base_b ; -- Begin function _ZN9rocsparseL31bsrmm_large_blockdim_kernel_extILj16ELj16ELj2Eli21rocsparse_complex_numIfES2_S2_S2_EEvb20rocsparse_direction_T3_S4_llNS_24const_host_device_scalarIT7_EEPKT2_PKS4_PKT4_S4_PKT5_llS7_PT6_ll16rocsparse_order_21rocsparse_index_base_b
	.p2align	8
	.type	_ZN9rocsparseL31bsrmm_large_blockdim_kernel_extILj16ELj16ELj2Eli21rocsparse_complex_numIfES2_S2_S2_EEvb20rocsparse_direction_T3_S4_llNS_24const_host_device_scalarIT7_EEPKT2_PKS4_PKT4_S4_PKT5_llS7_PT6_ll16rocsparse_order_21rocsparse_index_base_b,@function
_ZN9rocsparseL31bsrmm_large_blockdim_kernel_extILj16ELj16ELj2Eli21rocsparse_complex_numIfES2_S2_S2_EEvb20rocsparse_direction_T3_S4_llNS_24const_host_device_scalarIT7_EEPKT2_PKS4_PKT4_S4_PKT5_llS7_PT6_ll16rocsparse_order_21rocsparse_index_base_b: ; @_ZN9rocsparseL31bsrmm_large_blockdim_kernel_extILj16ELj16ELj2Eli21rocsparse_complex_numIfES2_S2_S2_EEvb20rocsparse_direction_T3_S4_llNS_24const_host_device_scalarIT7_EEPKT2_PKS4_PKT4_S4_PKT5_llS7_PT6_ll16rocsparse_order_21rocsparse_index_base_b
; %bb.0:
	s_load_dwordx2 s[4:5], s[0:1], 0x20
	s_load_dwordx4 s[20:23], s[0:1], 0x80
	s_mov_b32 s6, s3
	s_add_u32 s3, s0, 32
	s_addc_u32 s7, s1, 0
	s_load_dwordx2 s[8:9], s[0:1], 0x60
	s_add_u32 s10, s0, 0x60
	s_addc_u32 s11, s1, 0
	s_waitcnt lgkmcnt(0)
	s_bitcmp1_b32 s22, 0
	s_cselect_b32 s3, s3, s4
	s_cselect_b32 s5, s7, s5
	v_mov_b32_e32 v2, s3
	s_cselect_b32 s3, s11, s9
	s_cselect_b32 s4, s10, s8
	v_mov_b32_e32 v3, s5
	v_mov_b32_e32 v4, s4
	;; [unrolled: 1-line block ×3, first 2 shown]
	flat_load_dwordx2 v[2:3], v[2:3]
	s_waitcnt vmcnt(0) lgkmcnt(0)
	v_cmp_eq_f32_e32 vcc, 0, v2
	flat_load_dwordx2 v[4:5], v[4:5]
	v_cmp_eq_f32_e64 s[8:9], 0, v3
	s_and_b64 s[8:9], vcc, s[8:9]
	s_waitcnt vmcnt(0) lgkmcnt(0)
	v_cmp_eq_f32_e64 s[10:11], 1.0, v4
	v_cmp_eq_f32_e64 s[4:5], 0, v5
	s_and_b64 s[10:11], s[10:11], s[4:5]
	s_and_b64 s[8:9], s[8:9], s[10:11]
	s_xor_b64 s[8:9], s[8:9], -1
	s_and_saveexec_b64 s[10:11], s[8:9]
	s_cbranch_execz .LBB30_47
; %bb.1:
	s_load_dwordx4 s[16:19], s[0:1], 0x0
	s_load_dwordx2 s[8:9], s[0:1], 0x28
	s_mov_b64 s[34:35], 0
	s_mov_b64 s[36:37], 0
	s_waitcnt lgkmcnt(0)
	s_cmp_lt_i32 s2, s18
	s_cselect_b64 s[14:15], -1, 0
	s_cmp_ge_i32 s2, s18
	s_cbranch_scc1 .LBB30_3
; %bb.2:
	s_ashr_i32 s3, s2, 31
	s_lshl_b64 s[10:11], s[2:3], 3
	s_add_u32 s10, s8, s10
	s_addc_u32 s11, s9, s11
	s_load_dwordx2 s[10:11], s[10:11], 0x0
	s_waitcnt lgkmcnt(0)
	s_sub_u32 s36, s10, s21
	s_subb_u32 s37, s11, 0
.LBB30_3:
	s_andn2_b64 vcc, exec, s[14:15]
	s_cbranch_vccnz .LBB30_5
; %bb.4:
	s_ashr_i32 s3, s2, 31
	s_lshl_b64 s[10:11], s[2:3], 3
	s_add_u32 s8, s8, s10
	s_addc_u32 s9, s9, s11
	s_load_dwordx2 s[8:9], s[8:9], 0x8
	s_waitcnt lgkmcnt(0)
	s_sub_u32 s34, s8, s21
	s_subb_u32 s35, s9, 0
.LBB30_5:
	s_load_dwordx2 s[22:23], s[0:1], 0x68
	s_load_dword s3, s[0:1], 0x40
	v_bfe_u32 v1, v0, 10, 10
	v_lshl_add_u32 v8, s6, 5, v1
	v_mov_b64_e32 v[10:11], s[34:35]
	v_add_u32_e32 v6, 16, v8
	v_and_b32_e32 v22, 0x3ff, v0
	v_cmp_ge_i64_e32 vcc, s[36:37], v[10:11]
	s_waitcnt lgkmcnt(0)
	v_cmp_gt_i32_e64 s[6:7], s3, v22
	v_cmp_gt_i32_e64 s[8:9], s19, v8
	;; [unrolled: 1-line block ×3, first 2 shown]
	s_cbranch_vccnz .LBB30_23
; %bb.6:
	s_load_dwordx4 s[24:27], s[0:1], 0x30
	s_load_dwordx4 s[28:31], s[0:1], 0x48
	v_cmp_gt_i32_e32 vcc, s3, v1
	v_mul_lo_u32 v10, s3, v1
	v_mov_b32_e32 v11, 0
	s_and_b64 s[38:39], s[6:7], vcc
	v_lshlrev_b32_e32 v18, 3, v22
	s_waitcnt lgkmcnt(0)
	v_lshl_add_u64 v[12:13], v[10:11], 3, s[26:27]
	v_mov_b32_e32 v19, v11
	v_mul_lo_u32 v10, s3, v22
	s_bitcmp1_b32 s16, 0
	v_lshlrev_b32_e32 v0, 3, v1
	v_lshlrev_b32_e32 v23, 7, v1
	v_lshl_add_u64 v[16:17], v[12:13], 0, v[18:19]
	v_lshl_add_u64 v[12:13], v[10:11], 3, s[26:27]
	v_mov_b32_e32 v1, v11
	v_ashrrev_i32_e32 v9, 31, v8
	s_cselect_b64 s[12:13], -1, 0
	v_add_u32_e32 v20, 0x1000, v0
	s_cmp_eq_u32 s17, 0
	v_lshl_add_u64 v[0:1], v[12:13], 0, v[0:1]
	v_mul_lo_u32 v7, s31, v8
	v_mul_lo_u32 v10, s30, v9
	v_mad_u64_u32 v[12:13], s[16:17], s30, v8, 0
	v_add3_u32 v13, v13, v10, v7
	v_ashrrev_i32_e32 v7, 31, v6
	v_mul_lo_u32 v10, s31, v6
	v_mul_lo_u32 v21, s30, v7
	v_mad_u64_u32 v[14:15], s[16:17], s30, v6, 0
	v_lshlrev_b32_e32 v19, 7, v22
	v_add3_u32 v15, v15, v21, v10
	s_cselect_b64 vcc, -1, 0
	v_mov_b32_e32 v10, v11
	s_mul_i32 s18, s3, s3
	v_cndmask_b32_e32 v17, v17, v1, vcc
	v_cndmask_b32_e32 v16, v16, v0, vcc
	v_add_u32_e32 v24, 0x1000, v19
	v_add_u32_e32 v25, 0x800, v23
	;; [unrolled: 1-line block ×4, first 2 shown]
	v_mov_b64_e32 v[0:1], v[10:11]
	s_branch .LBB30_9
.LBB30_7:                               ;   in Loop: Header=BB30_9 Depth=1
	s_or_b64 exec, exec, s[26:27]
.LBB30_8:                               ;   in Loop: Header=BB30_9 Depth=1
	s_or_b64 exec, exec, s[16:17]
	s_add_u32 s36, s36, 1
	s_addc_u32 s37, s37, 0
	v_mov_b64_e32 v[18:19], s[34:35]
	v_cmp_ge_i64_e32 vcc, s[36:37], v[18:19]
	s_barrier
	s_cbranch_vccnz .LBB30_24
.LBB30_9:                               ; =>This Loop Header: Depth=1
                                        ;     Child Loop BB30_19 Depth 2
                                        ;     Child Loop BB30_22 Depth 2
	s_and_saveexec_b64 s[16:17], s[6:7]
	s_cbranch_execz .LBB30_14
; %bb.10:                               ;   in Loop: Header=BB30_9 Depth=1
	s_lshl_b64 s[26:27], s[36:37], 2
	s_add_u32 s26, s24, s26
	s_addc_u32 s27, s25, s27
	s_load_dword s26, s[26:27], 0x0
	s_waitcnt lgkmcnt(0)
	s_sub_i32 s26, s26, s21
	s_mul_i32 s26, s26, s3
	v_add_u32_e32 v20, s26, v22
	v_ashrrev_i32_e32 v21, 31, v20
	v_mul_lo_u32 v28, s31, v20
	v_mad_u64_u32 v[18:19], s[26:27], s30, v20, 0
	v_mul_lo_u32 v29, s30, v21
	v_add3_u32 v19, v19, v29, v28
	v_lshl_add_u64 v[18:19], v[18:19], 3, s[28:29]
	v_lshl_add_u64 v[20:21], v[20:21], 3, s[28:29]
	s_and_saveexec_b64 s[26:27], s[8:9]
	s_cbranch_execz .LBB30_12
; %bb.11:                               ;   in Loop: Header=BB30_9 Depth=1
	v_lshl_add_u64 v[28:29], v[8:9], 3, v[18:19]
	v_lshl_add_u64 v[30:31], v[12:13], 3, v[20:21]
	v_cndmask_b32_e64 v29, v29, v31, s[12:13]
	v_cndmask_b32_e64 v28, v28, v30, s[12:13]
	global_load_dwordx2 v[28:29], v[28:29], off
	s_waitcnt vmcnt(0)
	ds_write_b64 v26, v[28:29]
.LBB30_12:                              ;   in Loop: Header=BB30_9 Depth=1
	s_or_b64 exec, exec, s[26:27]
	s_and_b64 exec, exec, s[10:11]
	s_cbranch_execz .LBB30_14
; %bb.13:                               ;   in Loop: Header=BB30_9 Depth=1
	v_lshl_add_u64 v[20:21], v[14:15], 3, v[20:21]
	v_lshl_add_u64 v[18:19], v[6:7], 3, v[18:19]
	v_cndmask_b32_e64 v19, v19, v21, s[12:13]
	v_cndmask_b32_e64 v18, v18, v20, s[12:13]
	global_load_dwordx2 v[18:19], v[18:19], off
	s_waitcnt vmcnt(0)
	ds_write_b64 v26, v[18:19] offset:2048
.LBB30_14:                              ;   in Loop: Header=BB30_9 Depth=1
	s_or_b64 exec, exec, s[16:17]
	s_and_saveexec_b64 s[16:17], s[38:39]
	s_cbranch_execz .LBB30_16
; %bb.15:                               ;   in Loop: Header=BB30_9 Depth=1
	s_mul_i32 s26, s37, s18
	s_mul_hi_u32 s27, s36, s18
	s_add_i32 s27, s27, s26
	s_mul_i32 s26, s36, s18
	v_lshl_add_u64 v[18:19], s[26:27], 3, v[16:17]
	global_load_dwordx2 v[18:19], v[18:19], off
	s_waitcnt vmcnt(0)
	ds_write_b64 v27, v[18:19]
.LBB30_16:                              ;   in Loop: Header=BB30_9 Depth=1
	s_or_b64 exec, exec, s[16:17]
	s_waitcnt lgkmcnt(0)
	s_barrier
	s_and_saveexec_b64 s[16:17], s[6:7]
	s_cbranch_execz .LBB30_8
; %bb.17:                               ;   in Loop: Header=BB30_9 Depth=1
	s_and_saveexec_b64 s[26:27], s[8:9]
	s_cbranch_execz .LBB30_20
; %bb.18:                               ;   in Loop: Header=BB30_9 Depth=1
	v_mov_b32_e32 v18, v24
	v_mov_b32_e32 v19, v23
	s_mov_b32 s33, s3
.LBB30_19:                              ;   Parent Loop BB30_9 Depth=1
                                        ; =>  This Inner Loop Header: Depth=2
	ds_read_b64 v[20:21], v19
	ds_read_b64 v[28:29], v18
	s_add_i32 s33, s33, -1
	v_add_u32_e32 v19, 8, v19
	v_add_u32_e32 v18, 8, v18
	s_cmp_lg_u32 s33, 0
	s_waitcnt lgkmcnt(0)
	v_xor_b32_e32 v30, 0x80000000, v29
	v_pk_fma_f32 v[10:11], v[28:29], v[20:21], v[10:11] op_sel_hi:[1,0,1]
	v_mov_b32_e32 v31, v28
	v_pk_fma_f32 v[10:11], v[30:31], v[20:21], v[10:11] op_sel:[0,1,0]
	s_cbranch_scc1 .LBB30_19
.LBB30_20:                              ;   in Loop: Header=BB30_9 Depth=1
	s_or_b64 exec, exec, s[26:27]
	s_and_saveexec_b64 s[26:27], s[10:11]
	s_cbranch_execz .LBB30_7
; %bb.21:                               ;   in Loop: Header=BB30_9 Depth=1
	v_mov_b32_e32 v18, v24
	s_mov_b32 s33, s3
	v_mov_b32_e32 v19, v25
.LBB30_22:                              ;   Parent Loop BB30_9 Depth=1
                                        ; =>  This Inner Loop Header: Depth=2
	ds_read_b64 v[20:21], v19
	ds_read_b64 v[28:29], v18
	s_add_i32 s33, s33, -1
	v_add_u32_e32 v19, 8, v19
	v_add_u32_e32 v18, 8, v18
	s_cmp_lg_u32 s33, 0
	s_waitcnt lgkmcnt(0)
	v_xor_b32_e32 v30, 0x80000000, v29
	v_pk_fma_f32 v[0:1], v[28:29], v[20:21], v[0:1] op_sel_hi:[1,0,1]
	v_mov_b32_e32 v31, v28
	v_pk_fma_f32 v[0:1], v[30:31], v[20:21], v[0:1] op_sel:[0,1,0]
	s_cbranch_scc1 .LBB30_22
	s_branch .LBB30_7
.LBB30_23:
	v_mov_b32_e32 v0, 0
	v_mov_b32_e32 v1, v0
	v_mov_b64_e32 v[10:11], v[0:1]
.LBB30_24:
	s_and_b64 s[6:7], s[14:15], s[6:7]
	s_and_b64 exec, exec, s[6:7]
	s_cbranch_execz .LBB30_47
; %bb.25:
	s_mul_i32 s2, s3, s2
	v_add_u32_e32 v12, s2, v22
	s_load_dwordx2 s[2:3], s[0:1], 0x70
	v_cmp_neq_f32_e32 vcc, 0, v4
	s_xor_b64 s[0:1], s[4:5], -1
	v_ashrrev_i32_e32 v13, 31, v12
	s_or_b64 s[4:5], vcc, s[0:1]
	s_waitcnt lgkmcnt(0)
	v_mul_lo_u32 v7, s2, v13
	v_mul_lo_u32 v9, s3, v12
	v_mad_u64_u32 v[14:15], s[6:7], s2, v12, 0
	s_cmp_lg_u32 s20, 1
	v_add3_u32 v15, v15, v7, v9
	s_cselect_b64 s[0:1], -1, 0
	v_lshl_add_u64 v[14:15], v[14:15], 3, s[22:23]
	v_lshl_add_u64 v[12:13], v[12:13], 3, s[22:23]
	v_cmp_gt_i32_e32 vcc, s19, v8
	s_and_saveexec_b64 s[6:7], vcc
	s_cbranch_execz .LBB30_36
; %bb.26:
	v_ashrrev_i32_e32 v9, 31, v8
	s_and_saveexec_b64 s[8:9], s[4:5]
	s_xor_b64 s[8:9], exec, s[8:9]
	s_cbranch_execz .LBB30_31
; %bb.27:
	s_mov_b64 s[10:11], -1
	s_and_b64 vcc, exec, s[0:1]
	s_cbranch_vccz .LBB30_29
; %bb.28:
	v_lshl_add_u64 v[16:17], v[8:9], 3, v[14:15]
	global_load_dwordx2 v[18:19], v[16:17], off
	v_xor_b32_e32 v20, 0x80000000, v3
	v_mov_b32_e32 v21, v2
	v_pk_mul_f32 v[20:21], v[10:11], v[20:21] op_sel:[1,0]
	v_xor_b32_e32 v22, 0x80000000, v5
	v_pk_fma_f32 v[20:21], v[2:3], v[10:11], v[20:21] op_sel_hi:[1,0,1]
	v_mov_b32_e32 v23, v4
	s_mov_b64 s[10:11], 0
	s_waitcnt vmcnt(0)
	v_pk_fma_f32 v[20:21], v[4:5], v[18:19], v[20:21] op_sel_hi:[1,0,1]
	s_nop 0
	v_pk_fma_f32 v[18:19], v[22:23], v[18:19], v[20:21] op_sel:[0,1,0]
	global_store_dwordx2 v[16:17], v[18:19], off
.LBB30_29:
	s_andn2_b64 vcc, exec, s[10:11]
	s_cbranch_vccnz .LBB30_31
; %bb.30:
	v_mul_lo_u32 v7, s3, v8
	v_mul_lo_u32 v16, s2, v9
	v_mad_u64_u32 v[8:9], s[10:11], s2, v8, 0
	v_add3_u32 v9, v9, v16, v7
	v_lshl_add_u64 v[8:9], v[8:9], 3, v[12:13]
	global_load_dwordx2 v[16:17], v[8:9], off
	v_xor_b32_e32 v18, 0x80000000, v3
	v_mov_b32_e32 v19, v2
	v_pk_mul_f32 v[18:19], v[10:11], v[18:19] op_sel:[1,0]
	v_xor_b32_e32 v20, 0x80000000, v5
	v_pk_fma_f32 v[10:11], v[2:3], v[10:11], v[18:19] op_sel_hi:[1,0,1]
	v_mov_b32_e32 v21, v4
	s_waitcnt vmcnt(0)
	v_pk_fma_f32 v[10:11], v[4:5], v[16:17], v[10:11] op_sel_hi:[1,0,1]
	s_nop 0
	v_pk_fma_f32 v[10:11], v[20:21], v[16:17], v[10:11] op_sel:[0,1,0]
	global_store_dwordx2 v[8:9], v[10:11], off
                                        ; implicit-def: $vgpr10_vgpr11
                                        ; implicit-def: $vgpr8
.LBB30_31:
	s_andn2_saveexec_b64 s[8:9], s[8:9]
	s_cbranch_execz .LBB30_36
; %bb.32:
	v_xor_b32_e32 v16, 0x80000000, v3
	v_mov_b32_e32 v17, v2
	v_pk_mul_f32 v[16:17], v[10:11], v[16:17] op_sel:[1,0]
	s_mov_b64 s[8:9], -1
	v_pk_fma_f32 v[10:11], v[2:3], v[10:11], v[16:17] op_sel_hi:[1,0,1]
	s_and_b64 vcc, exec, s[0:1]
	s_cbranch_vccz .LBB30_34
; %bb.33:
	v_lshl_add_u64 v[16:17], v[8:9], 3, v[14:15]
	global_store_dwordx2 v[16:17], v[10:11], off
	s_mov_b64 s[8:9], 0
.LBB30_34:
	s_andn2_b64 vcc, exec, s[8:9]
	s_cbranch_vccnz .LBB30_36
; %bb.35:
	v_mul_lo_u32 v7, s3, v8
	v_mul_lo_u32 v16, s2, v9
	v_mad_u64_u32 v[8:9], s[8:9], s2, v8, 0
	v_add3_u32 v9, v9, v16, v7
	v_lshl_add_u64 v[8:9], v[8:9], 3, v[12:13]
	global_store_dwordx2 v[8:9], v[10:11], off
.LBB30_36:
	s_or_b64 exec, exec, s[6:7]
	v_cmp_gt_i32_e32 vcc, s19, v6
	s_and_b64 exec, exec, vcc
	s_cbranch_execz .LBB30_47
; %bb.37:
	v_cndmask_b32_e64 v8, 0, 1, s[0:1]
	v_ashrrev_i32_e32 v7, 31, v6
	v_cmp_ne_u32_e64 s[0:1], 1, v8
	s_and_saveexec_b64 s[6:7], s[4:5]
	s_xor_b64 s[4:5], exec, s[6:7]
	s_cbranch_execz .LBB30_42
; %bb.38:
	s_and_b64 vcc, exec, s[0:1]
	s_mov_b64 s[6:7], -1
	s_cbranch_vccnz .LBB30_40
; %bb.39:
	v_lshl_add_u64 v[8:9], v[6:7], 3, v[14:15]
	global_load_dwordx2 v[10:11], v[8:9], off
	v_xor_b32_e32 v14, 0x80000000, v3
	v_mov_b32_e32 v15, v2
	v_pk_mul_f32 v[14:15], v[0:1], v[14:15] op_sel:[1,0]
	v_xor_b32_e32 v16, 0x80000000, v5
	v_pk_fma_f32 v[14:15], v[2:3], v[0:1], v[14:15] op_sel_hi:[1,0,1]
	v_mov_b32_e32 v17, v4
	s_mov_b64 s[6:7], 0
	s_waitcnt vmcnt(0)
	v_pk_fma_f32 v[14:15], v[4:5], v[10:11], v[14:15] op_sel_hi:[1,0,1]
	s_nop 0
	v_pk_fma_f32 v[10:11], v[16:17], v[10:11], v[14:15] op_sel:[0,1,0]
	global_store_dwordx2 v[8:9], v[10:11], off
.LBB30_40:
	s_andn2_b64 vcc, exec, s[6:7]
                                        ; implicit-def: $vgpr14_vgpr15
	s_cbranch_vccnz .LBB30_42
; %bb.41:
	v_mul_lo_u32 v8, s3, v6
	v_mul_lo_u32 v9, s2, v7
	v_mad_u64_u32 v[6:7], s[6:7], s2, v6, 0
	v_add3_u32 v7, v7, v9, v8
	v_lshl_add_u64 v[6:7], v[6:7], 3, v[12:13]
	global_load_dwordx2 v[8:9], v[6:7], off
	v_xor_b32_e32 v10, 0x80000000, v3
	v_mov_b32_e32 v11, v2
	v_pk_mul_f32 v[10:11], v[0:1], v[10:11] op_sel:[1,0]
	v_xor_b32_e32 v12, 0x80000000, v5
	v_pk_fma_f32 v[0:1], v[2:3], v[0:1], v[10:11] op_sel_hi:[1,0,1]
	v_mov_b32_e32 v13, v4
                                        ; implicit-def: $vgpr2_vgpr3
                                        ; implicit-def: $vgpr14_vgpr15
	s_waitcnt vmcnt(0)
	v_pk_fma_f32 v[0:1], v[4:5], v[8:9], v[0:1] op_sel_hi:[1,0,1]
	s_nop 0
	v_pk_fma_f32 v[0:1], v[12:13], v[8:9], v[0:1] op_sel:[0,1,0]
	global_store_dwordx2 v[6:7], v[0:1], off
                                        ; implicit-def: $vgpr12_vgpr13
                                        ; implicit-def: $vgpr0_vgpr1
                                        ; implicit-def: $vgpr6
.LBB30_42:
	s_andn2_saveexec_b64 s[4:5], s[4:5]
	s_cbranch_execz .LBB30_47
; %bb.43:
	v_xor_b32_e32 v4, 0x80000000, v3
	v_mov_b32_e32 v5, v2
	v_pk_mul_f32 v[4:5], v[0:1], v[4:5] op_sel:[1,0]
	s_and_b64 vcc, exec, s[0:1]
	v_pk_fma_f32 v[0:1], v[2:3], v[0:1], v[4:5] op_sel_hi:[1,0,1]
	s_mov_b64 s[0:1], -1
	s_cbranch_vccnz .LBB30_45
; %bb.44:
	v_lshl_add_u64 v[2:3], v[6:7], 3, v[14:15]
	s_mov_b64 s[0:1], 0
	global_store_dwordx2 v[2:3], v[0:1], off
.LBB30_45:
	s_andn2_b64 vcc, exec, s[0:1]
	s_cbranch_vccnz .LBB30_47
; %bb.46:
	v_mul_lo_u32 v4, s3, v6
	v_mul_lo_u32 v5, s2, v7
	v_mad_u64_u32 v[2:3], s[0:1], s2, v6, 0
	v_add3_u32 v3, v3, v5, v4
	v_lshl_add_u64 v[2:3], v[2:3], 3, v[12:13]
	global_store_dwordx2 v[2:3], v[0:1], off
.LBB30_47:
	s_endpgm
	.section	.rodata,"a",@progbits
	.p2align	6, 0x0
	.amdhsa_kernel _ZN9rocsparseL31bsrmm_large_blockdim_kernel_extILj16ELj16ELj2Eli21rocsparse_complex_numIfES2_S2_S2_EEvb20rocsparse_direction_T3_S4_llNS_24const_host_device_scalarIT7_EEPKT2_PKS4_PKT4_S4_PKT5_llS7_PT6_ll16rocsparse_order_21rocsparse_index_base_b
		.amdhsa_group_segment_fixed_size 6144
		.amdhsa_private_segment_fixed_size 0
		.amdhsa_kernarg_size 140
		.amdhsa_user_sgpr_count 2
		.amdhsa_user_sgpr_dispatch_ptr 0
		.amdhsa_user_sgpr_queue_ptr 0
		.amdhsa_user_sgpr_kernarg_segment_ptr 1
		.amdhsa_user_sgpr_dispatch_id 0
		.amdhsa_user_sgpr_kernarg_preload_length 0
		.amdhsa_user_sgpr_kernarg_preload_offset 0
		.amdhsa_user_sgpr_private_segment_size 0
		.amdhsa_uses_dynamic_stack 0
		.amdhsa_enable_private_segment 0
		.amdhsa_system_sgpr_workgroup_id_x 1
		.amdhsa_system_sgpr_workgroup_id_y 1
		.amdhsa_system_sgpr_workgroup_id_z 0
		.amdhsa_system_sgpr_workgroup_info 0
		.amdhsa_system_vgpr_workitem_id 1
		.amdhsa_next_free_vgpr 32
		.amdhsa_next_free_sgpr 40
		.amdhsa_accum_offset 32
		.amdhsa_reserve_vcc 1
		.amdhsa_float_round_mode_32 0
		.amdhsa_float_round_mode_16_64 0
		.amdhsa_float_denorm_mode_32 3
		.amdhsa_float_denorm_mode_16_64 3
		.amdhsa_dx10_clamp 1
		.amdhsa_ieee_mode 1
		.amdhsa_fp16_overflow 0
		.amdhsa_tg_split 0
		.amdhsa_exception_fp_ieee_invalid_op 0
		.amdhsa_exception_fp_denorm_src 0
		.amdhsa_exception_fp_ieee_div_zero 0
		.amdhsa_exception_fp_ieee_overflow 0
		.amdhsa_exception_fp_ieee_underflow 0
		.amdhsa_exception_fp_ieee_inexact 0
		.amdhsa_exception_int_div_zero 0
	.end_amdhsa_kernel
	.section	.text._ZN9rocsparseL31bsrmm_large_blockdim_kernel_extILj16ELj16ELj2Eli21rocsparse_complex_numIfES2_S2_S2_EEvb20rocsparse_direction_T3_S4_llNS_24const_host_device_scalarIT7_EEPKT2_PKS4_PKT4_S4_PKT5_llS7_PT6_ll16rocsparse_order_21rocsparse_index_base_b,"axG",@progbits,_ZN9rocsparseL31bsrmm_large_blockdim_kernel_extILj16ELj16ELj2Eli21rocsparse_complex_numIfES2_S2_S2_EEvb20rocsparse_direction_T3_S4_llNS_24const_host_device_scalarIT7_EEPKT2_PKS4_PKT4_S4_PKT5_llS7_PT6_ll16rocsparse_order_21rocsparse_index_base_b,comdat
.Lfunc_end30:
	.size	_ZN9rocsparseL31bsrmm_large_blockdim_kernel_extILj16ELj16ELj2Eli21rocsparse_complex_numIfES2_S2_S2_EEvb20rocsparse_direction_T3_S4_llNS_24const_host_device_scalarIT7_EEPKT2_PKS4_PKT4_S4_PKT5_llS7_PT6_ll16rocsparse_order_21rocsparse_index_base_b, .Lfunc_end30-_ZN9rocsparseL31bsrmm_large_blockdim_kernel_extILj16ELj16ELj2Eli21rocsparse_complex_numIfES2_S2_S2_EEvb20rocsparse_direction_T3_S4_llNS_24const_host_device_scalarIT7_EEPKT2_PKS4_PKT4_S4_PKT5_llS7_PT6_ll16rocsparse_order_21rocsparse_index_base_b
                                        ; -- End function
	.set _ZN9rocsparseL31bsrmm_large_blockdim_kernel_extILj16ELj16ELj2Eli21rocsparse_complex_numIfES2_S2_S2_EEvb20rocsparse_direction_T3_S4_llNS_24const_host_device_scalarIT7_EEPKT2_PKS4_PKT4_S4_PKT5_llS7_PT6_ll16rocsparse_order_21rocsparse_index_base_b.num_vgpr, 32
	.set _ZN9rocsparseL31bsrmm_large_blockdim_kernel_extILj16ELj16ELj2Eli21rocsparse_complex_numIfES2_S2_S2_EEvb20rocsparse_direction_T3_S4_llNS_24const_host_device_scalarIT7_EEPKT2_PKS4_PKT4_S4_PKT5_llS7_PT6_ll16rocsparse_order_21rocsparse_index_base_b.num_agpr, 0
	.set _ZN9rocsparseL31bsrmm_large_blockdim_kernel_extILj16ELj16ELj2Eli21rocsparse_complex_numIfES2_S2_S2_EEvb20rocsparse_direction_T3_S4_llNS_24const_host_device_scalarIT7_EEPKT2_PKS4_PKT4_S4_PKT5_llS7_PT6_ll16rocsparse_order_21rocsparse_index_base_b.numbered_sgpr, 40
	.set _ZN9rocsparseL31bsrmm_large_blockdim_kernel_extILj16ELj16ELj2Eli21rocsparse_complex_numIfES2_S2_S2_EEvb20rocsparse_direction_T3_S4_llNS_24const_host_device_scalarIT7_EEPKT2_PKS4_PKT4_S4_PKT5_llS7_PT6_ll16rocsparse_order_21rocsparse_index_base_b.num_named_barrier, 0
	.set _ZN9rocsparseL31bsrmm_large_blockdim_kernel_extILj16ELj16ELj2Eli21rocsparse_complex_numIfES2_S2_S2_EEvb20rocsparse_direction_T3_S4_llNS_24const_host_device_scalarIT7_EEPKT2_PKS4_PKT4_S4_PKT5_llS7_PT6_ll16rocsparse_order_21rocsparse_index_base_b.private_seg_size, 0
	.set _ZN9rocsparseL31bsrmm_large_blockdim_kernel_extILj16ELj16ELj2Eli21rocsparse_complex_numIfES2_S2_S2_EEvb20rocsparse_direction_T3_S4_llNS_24const_host_device_scalarIT7_EEPKT2_PKS4_PKT4_S4_PKT5_llS7_PT6_ll16rocsparse_order_21rocsparse_index_base_b.uses_vcc, 1
	.set _ZN9rocsparseL31bsrmm_large_blockdim_kernel_extILj16ELj16ELj2Eli21rocsparse_complex_numIfES2_S2_S2_EEvb20rocsparse_direction_T3_S4_llNS_24const_host_device_scalarIT7_EEPKT2_PKS4_PKT4_S4_PKT5_llS7_PT6_ll16rocsparse_order_21rocsparse_index_base_b.uses_flat_scratch, 0
	.set _ZN9rocsparseL31bsrmm_large_blockdim_kernel_extILj16ELj16ELj2Eli21rocsparse_complex_numIfES2_S2_S2_EEvb20rocsparse_direction_T3_S4_llNS_24const_host_device_scalarIT7_EEPKT2_PKS4_PKT4_S4_PKT5_llS7_PT6_ll16rocsparse_order_21rocsparse_index_base_b.has_dyn_sized_stack, 0
	.set _ZN9rocsparseL31bsrmm_large_blockdim_kernel_extILj16ELj16ELj2Eli21rocsparse_complex_numIfES2_S2_S2_EEvb20rocsparse_direction_T3_S4_llNS_24const_host_device_scalarIT7_EEPKT2_PKS4_PKT4_S4_PKT5_llS7_PT6_ll16rocsparse_order_21rocsparse_index_base_b.has_recursion, 0
	.set _ZN9rocsparseL31bsrmm_large_blockdim_kernel_extILj16ELj16ELj2Eli21rocsparse_complex_numIfES2_S2_S2_EEvb20rocsparse_direction_T3_S4_llNS_24const_host_device_scalarIT7_EEPKT2_PKS4_PKT4_S4_PKT5_llS7_PT6_ll16rocsparse_order_21rocsparse_index_base_b.has_indirect_call, 0
	.section	.AMDGPU.csdata,"",@progbits
; Kernel info:
; codeLenInByte = 2040
; TotalNumSgprs: 46
; NumVgprs: 32
; NumAgprs: 0
; TotalNumVgprs: 32
; ScratchSize: 0
; MemoryBound: 0
; FloatMode: 240
; IeeeMode: 1
; LDSByteSize: 6144 bytes/workgroup (compile time only)
; SGPRBlocks: 5
; VGPRBlocks: 3
; NumSGPRsForWavesPerEU: 46
; NumVGPRsForWavesPerEU: 32
; AccumOffset: 32
; Occupancy: 8
; WaveLimiterHint : 1
; COMPUTE_PGM_RSRC2:SCRATCH_EN: 0
; COMPUTE_PGM_RSRC2:USER_SGPR: 2
; COMPUTE_PGM_RSRC2:TRAP_HANDLER: 0
; COMPUTE_PGM_RSRC2:TGID_X_EN: 1
; COMPUTE_PGM_RSRC2:TGID_Y_EN: 1
; COMPUTE_PGM_RSRC2:TGID_Z_EN: 0
; COMPUTE_PGM_RSRC2:TIDIG_COMP_CNT: 1
; COMPUTE_PGM_RSRC3_GFX90A:ACCUM_OFFSET: 7
; COMPUTE_PGM_RSRC3_GFX90A:TG_SPLIT: 0
	.section	.text._ZN9rocsparseL31bsrmm_large_blockdim_kernel_extILj32ELj32ELj2Eli21rocsparse_complex_numIfES2_S2_S2_EEvb20rocsparse_direction_T3_S4_llNS_24const_host_device_scalarIT7_EEPKT2_PKS4_PKT4_S4_PKT5_llS7_PT6_ll16rocsparse_order_21rocsparse_index_base_b,"axG",@progbits,_ZN9rocsparseL31bsrmm_large_blockdim_kernel_extILj32ELj32ELj2Eli21rocsparse_complex_numIfES2_S2_S2_EEvb20rocsparse_direction_T3_S4_llNS_24const_host_device_scalarIT7_EEPKT2_PKS4_PKT4_S4_PKT5_llS7_PT6_ll16rocsparse_order_21rocsparse_index_base_b,comdat
	.globl	_ZN9rocsparseL31bsrmm_large_blockdim_kernel_extILj32ELj32ELj2Eli21rocsparse_complex_numIfES2_S2_S2_EEvb20rocsparse_direction_T3_S4_llNS_24const_host_device_scalarIT7_EEPKT2_PKS4_PKT4_S4_PKT5_llS7_PT6_ll16rocsparse_order_21rocsparse_index_base_b ; -- Begin function _ZN9rocsparseL31bsrmm_large_blockdim_kernel_extILj32ELj32ELj2Eli21rocsparse_complex_numIfES2_S2_S2_EEvb20rocsparse_direction_T3_S4_llNS_24const_host_device_scalarIT7_EEPKT2_PKS4_PKT4_S4_PKT5_llS7_PT6_ll16rocsparse_order_21rocsparse_index_base_b
	.p2align	8
	.type	_ZN9rocsparseL31bsrmm_large_blockdim_kernel_extILj32ELj32ELj2Eli21rocsparse_complex_numIfES2_S2_S2_EEvb20rocsparse_direction_T3_S4_llNS_24const_host_device_scalarIT7_EEPKT2_PKS4_PKT4_S4_PKT5_llS7_PT6_ll16rocsparse_order_21rocsparse_index_base_b,@function
_ZN9rocsparseL31bsrmm_large_blockdim_kernel_extILj32ELj32ELj2Eli21rocsparse_complex_numIfES2_S2_S2_EEvb20rocsparse_direction_T3_S4_llNS_24const_host_device_scalarIT7_EEPKT2_PKS4_PKT4_S4_PKT5_llS7_PT6_ll16rocsparse_order_21rocsparse_index_base_b: ; @_ZN9rocsparseL31bsrmm_large_blockdim_kernel_extILj32ELj32ELj2Eli21rocsparse_complex_numIfES2_S2_S2_EEvb20rocsparse_direction_T3_S4_llNS_24const_host_device_scalarIT7_EEPKT2_PKS4_PKT4_S4_PKT5_llS7_PT6_ll16rocsparse_order_21rocsparse_index_base_b
; %bb.0:
	s_load_dwordx2 s[4:5], s[0:1], 0x20
	s_load_dwordx4 s[20:23], s[0:1], 0x80
	s_mov_b32 s6, s3
	s_add_u32 s3, s0, 32
	s_addc_u32 s7, s1, 0
	s_load_dwordx2 s[8:9], s[0:1], 0x60
	s_add_u32 s10, s0, 0x60
	s_addc_u32 s11, s1, 0
	s_waitcnt lgkmcnt(0)
	s_bitcmp1_b32 s22, 0
	s_cselect_b32 s3, s3, s4
	s_cselect_b32 s5, s7, s5
	v_mov_b32_e32 v2, s3
	s_cselect_b32 s3, s11, s9
	s_cselect_b32 s4, s10, s8
	v_mov_b32_e32 v3, s5
	v_mov_b32_e32 v4, s4
	;; [unrolled: 1-line block ×3, first 2 shown]
	flat_load_dwordx2 v[2:3], v[2:3]
	s_waitcnt vmcnt(0) lgkmcnt(0)
	v_cmp_eq_f32_e32 vcc, 0, v2
	flat_load_dwordx2 v[4:5], v[4:5]
	v_cmp_eq_f32_e64 s[8:9], 0, v3
	s_and_b64 s[8:9], vcc, s[8:9]
	s_waitcnt vmcnt(0) lgkmcnt(0)
	v_cmp_eq_f32_e64 s[10:11], 1.0, v4
	v_cmp_eq_f32_e64 s[4:5], 0, v5
	s_and_b64 s[10:11], s[10:11], s[4:5]
	s_and_b64 s[8:9], s[8:9], s[10:11]
	s_xor_b64 s[8:9], s[8:9], -1
	s_and_saveexec_b64 s[10:11], s[8:9]
	s_cbranch_execz .LBB31_47
; %bb.1:
	s_load_dwordx4 s[16:19], s[0:1], 0x0
	s_load_dwordx2 s[8:9], s[0:1], 0x28
	s_mov_b64 s[38:39], 0
	s_mov_b64 s[34:35], 0
	s_waitcnt lgkmcnt(0)
	s_cmp_lt_i32 s2, s18
	s_cselect_b64 s[14:15], -1, 0
	s_cmp_ge_i32 s2, s18
	s_cbranch_scc1 .LBB31_3
; %bb.2:
	s_ashr_i32 s3, s2, 31
	s_lshl_b64 s[10:11], s[2:3], 3
	s_add_u32 s10, s8, s10
	s_addc_u32 s11, s9, s11
	s_load_dwordx2 s[10:11], s[10:11], 0x0
	s_waitcnt lgkmcnt(0)
	s_sub_u32 s34, s10, s21
	s_subb_u32 s35, s11, 0
.LBB31_3:
	s_andn2_b64 vcc, exec, s[14:15]
	s_cbranch_vccnz .LBB31_5
; %bb.4:
	s_ashr_i32 s3, s2, 31
	s_lshl_b64 s[10:11], s[2:3], 3
	s_add_u32 s8, s8, s10
	s_addc_u32 s9, s9, s11
	s_load_dwordx2 s[8:9], s[8:9], 0x8
	s_waitcnt lgkmcnt(0)
	s_sub_u32 s38, s8, s21
	s_subb_u32 s39, s9, 0
.LBB31_5:
	s_load_dwordx2 s[22:23], s[0:1], 0x68
	s_load_dword s3, s[0:1], 0x40
	v_bfe_u32 v1, v0, 10, 10
	v_lshl_add_u32 v8, s6, 6, v1
	v_mov_b64_e32 v[10:11], s[38:39]
	v_add_u32_e32 v6, 32, v8
	v_and_b32_e32 v24, 0x3ff, v0
	v_cmp_ge_i64_e32 vcc, s[34:35], v[10:11]
	s_waitcnt lgkmcnt(0)
	v_cmp_gt_i32_e64 s[6:7], s3, v24
	v_cmp_gt_i32_e64 s[8:9], s19, v8
	;; [unrolled: 1-line block ×3, first 2 shown]
	s_cbranch_vccnz .LBB31_23
; %bb.6:
	s_load_dwordx4 s[24:27], s[0:1], 0x30
	s_load_dwordx4 s[28:31], s[0:1], 0x48
	v_cmp_gt_i32_e32 vcc, s3, v1
	v_mul_lo_u32 v10, s3, v1
	v_mov_b32_e32 v11, 0
	s_and_b64 s[36:37], s[6:7], vcc
	v_lshlrev_b32_e32 v18, 3, v24
	s_waitcnt lgkmcnt(0)
	v_lshl_add_u64 v[12:13], v[10:11], 3, s[26:27]
	v_mov_b32_e32 v19, v11
	v_mul_lo_u32 v10, s3, v24
	s_bitcmp1_b32 s16, 0
	v_lshlrev_b32_e32 v0, 3, v1
	v_lshlrev_b32_e32 v25, 8, v1
	v_lshl_add_u64 v[16:17], v[12:13], 0, v[18:19]
	v_lshl_add_u64 v[12:13], v[10:11], 3, s[26:27]
	v_mov_b32_e32 v1, v11
	v_ashrrev_i32_e32 v9, 31, v8
	s_cselect_b64 s[12:13], -1, 0
	v_or_b32_e32 v20, 0x4000, v0
	s_cmp_eq_u32 s17, 0
	v_lshl_add_u64 v[0:1], v[12:13], 0, v[0:1]
	v_mul_lo_u32 v7, s31, v8
	v_mul_lo_u32 v10, s30, v9
	v_mad_u64_u32 v[12:13], s[16:17], s30, v8, 0
	v_add3_u32 v13, v13, v10, v7
	v_ashrrev_i32_e32 v7, 31, v6
	v_mul_lo_u32 v10, s31, v6
	v_mul_lo_u32 v21, s30, v7
	v_mad_u64_u32 v[14:15], s[16:17], s30, v6, 0
	v_lshlrev_b32_e32 v19, 8, v24
	v_add3_u32 v15, v15, v21, v10
	s_cselect_b64 vcc, -1, 0
	v_mov_b32_e32 v10, v11
	s_mul_i32 s18, s3, s3
	v_cndmask_b32_e32 v17, v17, v1, vcc
	v_cndmask_b32_e32 v16, v16, v0, vcc
	v_add_u32_e32 v26, 0x4000, v19
	v_add_u32_e32 v27, 0x2000, v25
	;; [unrolled: 1-line block ×4, first 2 shown]
	v_mov_b64_e32 v[18:19], s[38:39]
	v_mov_b64_e32 v[0:1], v[10:11]
	s_branch .LBB31_9
.LBB31_7:                               ;   in Loop: Header=BB31_9 Depth=1
	s_or_b64 exec, exec, s[26:27]
.LBB31_8:                               ;   in Loop: Header=BB31_9 Depth=1
	s_or_b64 exec, exec, s[16:17]
	s_add_u32 s34, s34, 1
	s_addc_u32 s35, s35, 0
	v_cmp_ge_i64_e32 vcc, s[34:35], v[18:19]
	s_barrier
	s_cbranch_vccnz .LBB31_24
.LBB31_9:                               ; =>This Loop Header: Depth=1
                                        ;     Child Loop BB31_19 Depth 2
                                        ;     Child Loop BB31_22 Depth 2
	s_and_saveexec_b64 s[16:17], s[6:7]
	s_cbranch_execz .LBB31_14
; %bb.10:                               ;   in Loop: Header=BB31_9 Depth=1
	s_lshl_b64 s[26:27], s[34:35], 2
	s_add_u32 s26, s24, s26
	s_addc_u32 s27, s25, s27
	s_load_dword s26, s[26:27], 0x0
	s_waitcnt lgkmcnt(0)
	s_sub_i32 s26, s26, s21
	s_mul_i32 s26, s26, s3
	v_add_u32_e32 v22, s26, v24
	v_ashrrev_i32_e32 v23, 31, v22
	v_mul_lo_u32 v30, s31, v22
	v_mad_u64_u32 v[20:21], s[26:27], s30, v22, 0
	v_mul_lo_u32 v31, s30, v23
	v_add3_u32 v21, v21, v31, v30
	v_lshl_add_u64 v[20:21], v[20:21], 3, s[28:29]
	v_lshl_add_u64 v[22:23], v[22:23], 3, s[28:29]
	s_and_saveexec_b64 s[26:27], s[8:9]
	s_cbranch_execz .LBB31_12
; %bb.11:                               ;   in Loop: Header=BB31_9 Depth=1
	v_lshl_add_u64 v[30:31], v[8:9], 3, v[20:21]
	v_lshl_add_u64 v[32:33], v[12:13], 3, v[22:23]
	v_cndmask_b32_e64 v31, v31, v33, s[12:13]
	v_cndmask_b32_e64 v30, v30, v32, s[12:13]
	global_load_dwordx2 v[30:31], v[30:31], off
	s_waitcnt vmcnt(0)
	ds_write_b64 v28, v[30:31]
.LBB31_12:                              ;   in Loop: Header=BB31_9 Depth=1
	s_or_b64 exec, exec, s[26:27]
	s_and_b64 exec, exec, s[10:11]
	s_cbranch_execz .LBB31_14
; %bb.13:                               ;   in Loop: Header=BB31_9 Depth=1
	v_lshl_add_u64 v[22:23], v[14:15], 3, v[22:23]
	v_lshl_add_u64 v[20:21], v[6:7], 3, v[20:21]
	v_cndmask_b32_e64 v21, v21, v23, s[12:13]
	v_cndmask_b32_e64 v20, v20, v22, s[12:13]
	global_load_dwordx2 v[20:21], v[20:21], off
	s_waitcnt vmcnt(0)
	ds_write_b64 v28, v[20:21] offset:8192
.LBB31_14:                              ;   in Loop: Header=BB31_9 Depth=1
	s_or_b64 exec, exec, s[16:17]
	s_and_saveexec_b64 s[16:17], s[36:37]
	s_cbranch_execz .LBB31_16
; %bb.15:                               ;   in Loop: Header=BB31_9 Depth=1
	s_mul_i32 s26, s35, s18
	s_mul_hi_u32 s27, s34, s18
	s_add_i32 s27, s27, s26
	s_mul_i32 s26, s34, s18
	v_lshl_add_u64 v[20:21], s[26:27], 3, v[16:17]
	global_load_dwordx2 v[20:21], v[20:21], off
	s_waitcnt vmcnt(0)
	ds_write_b64 v29, v[20:21]
.LBB31_16:                              ;   in Loop: Header=BB31_9 Depth=1
	s_or_b64 exec, exec, s[16:17]
	s_waitcnt lgkmcnt(0)
	s_barrier
	s_and_saveexec_b64 s[16:17], s[6:7]
	s_cbranch_execz .LBB31_8
; %bb.17:                               ;   in Loop: Header=BB31_9 Depth=1
	s_and_saveexec_b64 s[26:27], s[8:9]
	s_cbranch_execz .LBB31_20
; %bb.18:                               ;   in Loop: Header=BB31_9 Depth=1
	v_mov_b32_e32 v20, v26
	v_mov_b32_e32 v21, v25
	s_mov_b32 s33, s3
.LBB31_19:                              ;   Parent Loop BB31_9 Depth=1
                                        ; =>  This Inner Loop Header: Depth=2
	ds_read_b64 v[22:23], v21
	ds_read_b64 v[30:31], v20
	s_add_i32 s33, s33, -1
	v_add_u32_e32 v21, 8, v21
	v_add_u32_e32 v20, 8, v20
	s_cmp_lg_u32 s33, 0
	s_waitcnt lgkmcnt(0)
	v_xor_b32_e32 v32, 0x80000000, v31
	v_pk_fma_f32 v[10:11], v[30:31], v[22:23], v[10:11] op_sel_hi:[1,0,1]
	v_mov_b32_e32 v33, v30
	v_pk_fma_f32 v[10:11], v[32:33], v[22:23], v[10:11] op_sel:[0,1,0]
	s_cbranch_scc1 .LBB31_19
.LBB31_20:                              ;   in Loop: Header=BB31_9 Depth=1
	s_or_b64 exec, exec, s[26:27]
	s_and_saveexec_b64 s[26:27], s[10:11]
	s_cbranch_execz .LBB31_7
; %bb.21:                               ;   in Loop: Header=BB31_9 Depth=1
	v_mov_b32_e32 v20, v26
	s_mov_b32 s33, s3
	v_mov_b32_e32 v21, v27
.LBB31_22:                              ;   Parent Loop BB31_9 Depth=1
                                        ; =>  This Inner Loop Header: Depth=2
	ds_read_b64 v[22:23], v21
	ds_read_b64 v[30:31], v20
	s_add_i32 s33, s33, -1
	v_add_u32_e32 v21, 8, v21
	v_add_u32_e32 v20, 8, v20
	s_cmp_lg_u32 s33, 0
	s_waitcnt lgkmcnt(0)
	v_xor_b32_e32 v32, 0x80000000, v31
	v_pk_fma_f32 v[0:1], v[30:31], v[22:23], v[0:1] op_sel_hi:[1,0,1]
	v_mov_b32_e32 v33, v30
	v_pk_fma_f32 v[0:1], v[32:33], v[22:23], v[0:1] op_sel:[0,1,0]
	s_cbranch_scc1 .LBB31_22
	s_branch .LBB31_7
.LBB31_23:
	v_mov_b32_e32 v0, 0
	v_mov_b32_e32 v1, v0
	v_mov_b64_e32 v[10:11], v[0:1]
.LBB31_24:
	s_and_b64 s[6:7], s[14:15], s[6:7]
	s_and_b64 exec, exec, s[6:7]
	s_cbranch_execz .LBB31_47
; %bb.25:
	s_mul_i32 s2, s3, s2
	v_add_u32_e32 v12, s2, v24
	s_load_dwordx2 s[2:3], s[0:1], 0x70
	v_cmp_neq_f32_e32 vcc, 0, v4
	s_xor_b64 s[0:1], s[4:5], -1
	v_ashrrev_i32_e32 v13, 31, v12
	s_or_b64 s[4:5], vcc, s[0:1]
	s_waitcnt lgkmcnt(0)
	v_mul_lo_u32 v7, s2, v13
	v_mul_lo_u32 v9, s3, v12
	v_mad_u64_u32 v[14:15], s[6:7], s2, v12, 0
	s_cmp_lg_u32 s20, 1
	v_add3_u32 v15, v15, v7, v9
	s_cselect_b64 s[0:1], -1, 0
	v_lshl_add_u64 v[14:15], v[14:15], 3, s[22:23]
	v_lshl_add_u64 v[12:13], v[12:13], 3, s[22:23]
	v_cmp_gt_i32_e32 vcc, s19, v8
	s_and_saveexec_b64 s[6:7], vcc
	s_cbranch_execz .LBB31_36
; %bb.26:
	v_ashrrev_i32_e32 v9, 31, v8
	s_and_saveexec_b64 s[8:9], s[4:5]
	s_xor_b64 s[8:9], exec, s[8:9]
	s_cbranch_execz .LBB31_31
; %bb.27:
	s_mov_b64 s[10:11], -1
	s_and_b64 vcc, exec, s[0:1]
	s_cbranch_vccz .LBB31_29
; %bb.28:
	v_lshl_add_u64 v[16:17], v[8:9], 3, v[14:15]
	global_load_dwordx2 v[18:19], v[16:17], off
	v_xor_b32_e32 v20, 0x80000000, v3
	v_mov_b32_e32 v21, v2
	v_pk_mul_f32 v[20:21], v[10:11], v[20:21] op_sel:[1,0]
	v_xor_b32_e32 v22, 0x80000000, v5
	v_pk_fma_f32 v[20:21], v[2:3], v[10:11], v[20:21] op_sel_hi:[1,0,1]
	v_mov_b32_e32 v23, v4
	s_mov_b64 s[10:11], 0
	s_waitcnt vmcnt(0)
	v_pk_fma_f32 v[20:21], v[4:5], v[18:19], v[20:21] op_sel_hi:[1,0,1]
	s_nop 0
	v_pk_fma_f32 v[18:19], v[22:23], v[18:19], v[20:21] op_sel:[0,1,0]
	global_store_dwordx2 v[16:17], v[18:19], off
.LBB31_29:
	s_andn2_b64 vcc, exec, s[10:11]
	s_cbranch_vccnz .LBB31_31
; %bb.30:
	v_mul_lo_u32 v7, s3, v8
	v_mul_lo_u32 v16, s2, v9
	v_mad_u64_u32 v[8:9], s[10:11], s2, v8, 0
	v_add3_u32 v9, v9, v16, v7
	v_lshl_add_u64 v[8:9], v[8:9], 3, v[12:13]
	global_load_dwordx2 v[16:17], v[8:9], off
	v_xor_b32_e32 v18, 0x80000000, v3
	v_mov_b32_e32 v19, v2
	v_pk_mul_f32 v[18:19], v[10:11], v[18:19] op_sel:[1,0]
	v_xor_b32_e32 v20, 0x80000000, v5
	v_pk_fma_f32 v[10:11], v[2:3], v[10:11], v[18:19] op_sel_hi:[1,0,1]
	v_mov_b32_e32 v21, v4
	s_waitcnt vmcnt(0)
	v_pk_fma_f32 v[10:11], v[4:5], v[16:17], v[10:11] op_sel_hi:[1,0,1]
	s_nop 0
	v_pk_fma_f32 v[10:11], v[20:21], v[16:17], v[10:11] op_sel:[0,1,0]
	global_store_dwordx2 v[8:9], v[10:11], off
                                        ; implicit-def: $vgpr10_vgpr11
                                        ; implicit-def: $vgpr8
.LBB31_31:
	s_andn2_saveexec_b64 s[8:9], s[8:9]
	s_cbranch_execz .LBB31_36
; %bb.32:
	v_xor_b32_e32 v16, 0x80000000, v3
	v_mov_b32_e32 v17, v2
	v_pk_mul_f32 v[16:17], v[10:11], v[16:17] op_sel:[1,0]
	s_mov_b64 s[8:9], -1
	v_pk_fma_f32 v[10:11], v[2:3], v[10:11], v[16:17] op_sel_hi:[1,0,1]
	s_and_b64 vcc, exec, s[0:1]
	s_cbranch_vccz .LBB31_34
; %bb.33:
	v_lshl_add_u64 v[16:17], v[8:9], 3, v[14:15]
	global_store_dwordx2 v[16:17], v[10:11], off
	s_mov_b64 s[8:9], 0
.LBB31_34:
	s_andn2_b64 vcc, exec, s[8:9]
	s_cbranch_vccnz .LBB31_36
; %bb.35:
	v_mul_lo_u32 v7, s3, v8
	v_mul_lo_u32 v16, s2, v9
	v_mad_u64_u32 v[8:9], s[8:9], s2, v8, 0
	v_add3_u32 v9, v9, v16, v7
	v_lshl_add_u64 v[8:9], v[8:9], 3, v[12:13]
	global_store_dwordx2 v[8:9], v[10:11], off
.LBB31_36:
	s_or_b64 exec, exec, s[6:7]
	v_cmp_gt_i32_e32 vcc, s19, v6
	s_and_b64 exec, exec, vcc
	s_cbranch_execz .LBB31_47
; %bb.37:
	v_cndmask_b32_e64 v8, 0, 1, s[0:1]
	v_ashrrev_i32_e32 v7, 31, v6
	v_cmp_ne_u32_e64 s[0:1], 1, v8
	s_and_saveexec_b64 s[6:7], s[4:5]
	s_xor_b64 s[4:5], exec, s[6:7]
	s_cbranch_execz .LBB31_42
; %bb.38:
	s_and_b64 vcc, exec, s[0:1]
	s_mov_b64 s[6:7], -1
	s_cbranch_vccnz .LBB31_40
; %bb.39:
	v_lshl_add_u64 v[8:9], v[6:7], 3, v[14:15]
	global_load_dwordx2 v[10:11], v[8:9], off
	v_xor_b32_e32 v14, 0x80000000, v3
	v_mov_b32_e32 v15, v2
	v_pk_mul_f32 v[14:15], v[0:1], v[14:15] op_sel:[1,0]
	v_xor_b32_e32 v16, 0x80000000, v5
	v_pk_fma_f32 v[14:15], v[2:3], v[0:1], v[14:15] op_sel_hi:[1,0,1]
	v_mov_b32_e32 v17, v4
	s_mov_b64 s[6:7], 0
	s_waitcnt vmcnt(0)
	v_pk_fma_f32 v[14:15], v[4:5], v[10:11], v[14:15] op_sel_hi:[1,0,1]
	s_nop 0
	v_pk_fma_f32 v[10:11], v[16:17], v[10:11], v[14:15] op_sel:[0,1,0]
	global_store_dwordx2 v[8:9], v[10:11], off
.LBB31_40:
	s_andn2_b64 vcc, exec, s[6:7]
                                        ; implicit-def: $vgpr14_vgpr15
	s_cbranch_vccnz .LBB31_42
; %bb.41:
	v_mul_lo_u32 v8, s3, v6
	v_mul_lo_u32 v9, s2, v7
	v_mad_u64_u32 v[6:7], s[6:7], s2, v6, 0
	v_add3_u32 v7, v7, v9, v8
	v_lshl_add_u64 v[6:7], v[6:7], 3, v[12:13]
	global_load_dwordx2 v[8:9], v[6:7], off
	v_xor_b32_e32 v10, 0x80000000, v3
	v_mov_b32_e32 v11, v2
	v_pk_mul_f32 v[10:11], v[0:1], v[10:11] op_sel:[1,0]
	v_xor_b32_e32 v12, 0x80000000, v5
	v_pk_fma_f32 v[0:1], v[2:3], v[0:1], v[10:11] op_sel_hi:[1,0,1]
	v_mov_b32_e32 v13, v4
                                        ; implicit-def: $vgpr2_vgpr3
                                        ; implicit-def: $vgpr14_vgpr15
	s_waitcnt vmcnt(0)
	v_pk_fma_f32 v[0:1], v[4:5], v[8:9], v[0:1] op_sel_hi:[1,0,1]
	s_nop 0
	v_pk_fma_f32 v[0:1], v[12:13], v[8:9], v[0:1] op_sel:[0,1,0]
	global_store_dwordx2 v[6:7], v[0:1], off
                                        ; implicit-def: $vgpr12_vgpr13
                                        ; implicit-def: $vgpr0_vgpr1
                                        ; implicit-def: $vgpr6
.LBB31_42:
	s_andn2_saveexec_b64 s[4:5], s[4:5]
	s_cbranch_execz .LBB31_47
; %bb.43:
	v_xor_b32_e32 v4, 0x80000000, v3
	v_mov_b32_e32 v5, v2
	v_pk_mul_f32 v[4:5], v[0:1], v[4:5] op_sel:[1,0]
	s_and_b64 vcc, exec, s[0:1]
	v_pk_fma_f32 v[0:1], v[2:3], v[0:1], v[4:5] op_sel_hi:[1,0,1]
	s_mov_b64 s[0:1], -1
	s_cbranch_vccnz .LBB31_45
; %bb.44:
	v_lshl_add_u64 v[2:3], v[6:7], 3, v[14:15]
	s_mov_b64 s[0:1], 0
	global_store_dwordx2 v[2:3], v[0:1], off
.LBB31_45:
	s_andn2_b64 vcc, exec, s[0:1]
	s_cbranch_vccnz .LBB31_47
; %bb.46:
	v_mul_lo_u32 v4, s3, v6
	v_mul_lo_u32 v5, s2, v7
	v_mad_u64_u32 v[2:3], s[0:1], s2, v6, 0
	v_add3_u32 v3, v3, v5, v4
	v_lshl_add_u64 v[2:3], v[2:3], 3, v[12:13]
	global_store_dwordx2 v[2:3], v[0:1], off
.LBB31_47:
	s_endpgm
	.section	.rodata,"a",@progbits
	.p2align	6, 0x0
	.amdhsa_kernel _ZN9rocsparseL31bsrmm_large_blockdim_kernel_extILj32ELj32ELj2Eli21rocsparse_complex_numIfES2_S2_S2_EEvb20rocsparse_direction_T3_S4_llNS_24const_host_device_scalarIT7_EEPKT2_PKS4_PKT4_S4_PKT5_llS7_PT6_ll16rocsparse_order_21rocsparse_index_base_b
		.amdhsa_group_segment_fixed_size 24576
		.amdhsa_private_segment_fixed_size 0
		.amdhsa_kernarg_size 140
		.amdhsa_user_sgpr_count 2
		.amdhsa_user_sgpr_dispatch_ptr 0
		.amdhsa_user_sgpr_queue_ptr 0
		.amdhsa_user_sgpr_kernarg_segment_ptr 1
		.amdhsa_user_sgpr_dispatch_id 0
		.amdhsa_user_sgpr_kernarg_preload_length 0
		.amdhsa_user_sgpr_kernarg_preload_offset 0
		.amdhsa_user_sgpr_private_segment_size 0
		.amdhsa_uses_dynamic_stack 0
		.amdhsa_enable_private_segment 0
		.amdhsa_system_sgpr_workgroup_id_x 1
		.amdhsa_system_sgpr_workgroup_id_y 1
		.amdhsa_system_sgpr_workgroup_id_z 0
		.amdhsa_system_sgpr_workgroup_info 0
		.amdhsa_system_vgpr_workitem_id 1
		.amdhsa_next_free_vgpr 34
		.amdhsa_next_free_sgpr 40
		.amdhsa_accum_offset 36
		.amdhsa_reserve_vcc 1
		.amdhsa_float_round_mode_32 0
		.amdhsa_float_round_mode_16_64 0
		.amdhsa_float_denorm_mode_32 3
		.amdhsa_float_denorm_mode_16_64 3
		.amdhsa_dx10_clamp 1
		.amdhsa_ieee_mode 1
		.amdhsa_fp16_overflow 0
		.amdhsa_tg_split 0
		.amdhsa_exception_fp_ieee_invalid_op 0
		.amdhsa_exception_fp_denorm_src 0
		.amdhsa_exception_fp_ieee_div_zero 0
		.amdhsa_exception_fp_ieee_overflow 0
		.amdhsa_exception_fp_ieee_underflow 0
		.amdhsa_exception_fp_ieee_inexact 0
		.amdhsa_exception_int_div_zero 0
	.end_amdhsa_kernel
	.section	.text._ZN9rocsparseL31bsrmm_large_blockdim_kernel_extILj32ELj32ELj2Eli21rocsparse_complex_numIfES2_S2_S2_EEvb20rocsparse_direction_T3_S4_llNS_24const_host_device_scalarIT7_EEPKT2_PKS4_PKT4_S4_PKT5_llS7_PT6_ll16rocsparse_order_21rocsparse_index_base_b,"axG",@progbits,_ZN9rocsparseL31bsrmm_large_blockdim_kernel_extILj32ELj32ELj2Eli21rocsparse_complex_numIfES2_S2_S2_EEvb20rocsparse_direction_T3_S4_llNS_24const_host_device_scalarIT7_EEPKT2_PKS4_PKT4_S4_PKT5_llS7_PT6_ll16rocsparse_order_21rocsparse_index_base_b,comdat
.Lfunc_end31:
	.size	_ZN9rocsparseL31bsrmm_large_blockdim_kernel_extILj32ELj32ELj2Eli21rocsparse_complex_numIfES2_S2_S2_EEvb20rocsparse_direction_T3_S4_llNS_24const_host_device_scalarIT7_EEPKT2_PKS4_PKT4_S4_PKT5_llS7_PT6_ll16rocsparse_order_21rocsparse_index_base_b, .Lfunc_end31-_ZN9rocsparseL31bsrmm_large_blockdim_kernel_extILj32ELj32ELj2Eli21rocsparse_complex_numIfES2_S2_S2_EEvb20rocsparse_direction_T3_S4_llNS_24const_host_device_scalarIT7_EEPKT2_PKS4_PKT4_S4_PKT5_llS7_PT6_ll16rocsparse_order_21rocsparse_index_base_b
                                        ; -- End function
	.set _ZN9rocsparseL31bsrmm_large_blockdim_kernel_extILj32ELj32ELj2Eli21rocsparse_complex_numIfES2_S2_S2_EEvb20rocsparse_direction_T3_S4_llNS_24const_host_device_scalarIT7_EEPKT2_PKS4_PKT4_S4_PKT5_llS7_PT6_ll16rocsparse_order_21rocsparse_index_base_b.num_vgpr, 34
	.set _ZN9rocsparseL31bsrmm_large_blockdim_kernel_extILj32ELj32ELj2Eli21rocsparse_complex_numIfES2_S2_S2_EEvb20rocsparse_direction_T3_S4_llNS_24const_host_device_scalarIT7_EEPKT2_PKS4_PKT4_S4_PKT5_llS7_PT6_ll16rocsparse_order_21rocsparse_index_base_b.num_agpr, 0
	.set _ZN9rocsparseL31bsrmm_large_blockdim_kernel_extILj32ELj32ELj2Eli21rocsparse_complex_numIfES2_S2_S2_EEvb20rocsparse_direction_T3_S4_llNS_24const_host_device_scalarIT7_EEPKT2_PKS4_PKT4_S4_PKT5_llS7_PT6_ll16rocsparse_order_21rocsparse_index_base_b.numbered_sgpr, 40
	.set _ZN9rocsparseL31bsrmm_large_blockdim_kernel_extILj32ELj32ELj2Eli21rocsparse_complex_numIfES2_S2_S2_EEvb20rocsparse_direction_T3_S4_llNS_24const_host_device_scalarIT7_EEPKT2_PKS4_PKT4_S4_PKT5_llS7_PT6_ll16rocsparse_order_21rocsparse_index_base_b.num_named_barrier, 0
	.set _ZN9rocsparseL31bsrmm_large_blockdim_kernel_extILj32ELj32ELj2Eli21rocsparse_complex_numIfES2_S2_S2_EEvb20rocsparse_direction_T3_S4_llNS_24const_host_device_scalarIT7_EEPKT2_PKS4_PKT4_S4_PKT5_llS7_PT6_ll16rocsparse_order_21rocsparse_index_base_b.private_seg_size, 0
	.set _ZN9rocsparseL31bsrmm_large_blockdim_kernel_extILj32ELj32ELj2Eli21rocsparse_complex_numIfES2_S2_S2_EEvb20rocsparse_direction_T3_S4_llNS_24const_host_device_scalarIT7_EEPKT2_PKS4_PKT4_S4_PKT5_llS7_PT6_ll16rocsparse_order_21rocsparse_index_base_b.uses_vcc, 1
	.set _ZN9rocsparseL31bsrmm_large_blockdim_kernel_extILj32ELj32ELj2Eli21rocsparse_complex_numIfES2_S2_S2_EEvb20rocsparse_direction_T3_S4_llNS_24const_host_device_scalarIT7_EEPKT2_PKS4_PKT4_S4_PKT5_llS7_PT6_ll16rocsparse_order_21rocsparse_index_base_b.uses_flat_scratch, 0
	.set _ZN9rocsparseL31bsrmm_large_blockdim_kernel_extILj32ELj32ELj2Eli21rocsparse_complex_numIfES2_S2_S2_EEvb20rocsparse_direction_T3_S4_llNS_24const_host_device_scalarIT7_EEPKT2_PKS4_PKT4_S4_PKT5_llS7_PT6_ll16rocsparse_order_21rocsparse_index_base_b.has_dyn_sized_stack, 0
	.set _ZN9rocsparseL31bsrmm_large_blockdim_kernel_extILj32ELj32ELj2Eli21rocsparse_complex_numIfES2_S2_S2_EEvb20rocsparse_direction_T3_S4_llNS_24const_host_device_scalarIT7_EEPKT2_PKS4_PKT4_S4_PKT5_llS7_PT6_ll16rocsparse_order_21rocsparse_index_base_b.has_recursion, 0
	.set _ZN9rocsparseL31bsrmm_large_blockdim_kernel_extILj32ELj32ELj2Eli21rocsparse_complex_numIfES2_S2_S2_EEvb20rocsparse_direction_T3_S4_llNS_24const_host_device_scalarIT7_EEPKT2_PKS4_PKT4_S4_PKT5_llS7_PT6_ll16rocsparse_order_21rocsparse_index_base_b.has_indirect_call, 0
	.section	.AMDGPU.csdata,"",@progbits
; Kernel info:
; codeLenInByte = 2040
; TotalNumSgprs: 46
; NumVgprs: 34
; NumAgprs: 0
; TotalNumVgprs: 34
; ScratchSize: 0
; MemoryBound: 0
; FloatMode: 240
; IeeeMode: 1
; LDSByteSize: 24576 bytes/workgroup (compile time only)
; SGPRBlocks: 5
; VGPRBlocks: 4
; NumSGPRsForWavesPerEU: 46
; NumVGPRsForWavesPerEU: 34
; AccumOffset: 36
; Occupancy: 8
; WaveLimiterHint : 1
; COMPUTE_PGM_RSRC2:SCRATCH_EN: 0
; COMPUTE_PGM_RSRC2:USER_SGPR: 2
; COMPUTE_PGM_RSRC2:TRAP_HANDLER: 0
; COMPUTE_PGM_RSRC2:TGID_X_EN: 1
; COMPUTE_PGM_RSRC2:TGID_Y_EN: 1
; COMPUTE_PGM_RSRC2:TGID_Z_EN: 0
; COMPUTE_PGM_RSRC2:TIDIG_COMP_CNT: 1
; COMPUTE_PGM_RSRC3_GFX90A:ACCUM_OFFSET: 8
; COMPUTE_PGM_RSRC3_GFX90A:TG_SPLIT: 0
	.section	.text._ZN9rocsparseL31bsrmm_large_blockdim_kernel_extILj8ELj8ELj2Ell21rocsparse_complex_numIfES2_S2_S2_EEvb20rocsparse_direction_T3_S4_llNS_24const_host_device_scalarIT7_EEPKT2_PKS4_PKT4_S4_PKT5_llS7_PT6_ll16rocsparse_order_21rocsparse_index_base_b,"axG",@progbits,_ZN9rocsparseL31bsrmm_large_blockdim_kernel_extILj8ELj8ELj2Ell21rocsparse_complex_numIfES2_S2_S2_EEvb20rocsparse_direction_T3_S4_llNS_24const_host_device_scalarIT7_EEPKT2_PKS4_PKT4_S4_PKT5_llS7_PT6_ll16rocsparse_order_21rocsparse_index_base_b,comdat
	.globl	_ZN9rocsparseL31bsrmm_large_blockdim_kernel_extILj8ELj8ELj2Ell21rocsparse_complex_numIfES2_S2_S2_EEvb20rocsparse_direction_T3_S4_llNS_24const_host_device_scalarIT7_EEPKT2_PKS4_PKT4_S4_PKT5_llS7_PT6_ll16rocsparse_order_21rocsparse_index_base_b ; -- Begin function _ZN9rocsparseL31bsrmm_large_blockdim_kernel_extILj8ELj8ELj2Ell21rocsparse_complex_numIfES2_S2_S2_EEvb20rocsparse_direction_T3_S4_llNS_24const_host_device_scalarIT7_EEPKT2_PKS4_PKT4_S4_PKT5_llS7_PT6_ll16rocsparse_order_21rocsparse_index_base_b
	.p2align	8
	.type	_ZN9rocsparseL31bsrmm_large_blockdim_kernel_extILj8ELj8ELj2Ell21rocsparse_complex_numIfES2_S2_S2_EEvb20rocsparse_direction_T3_S4_llNS_24const_host_device_scalarIT7_EEPKT2_PKS4_PKT4_S4_PKT5_llS7_PT6_ll16rocsparse_order_21rocsparse_index_base_b,@function
_ZN9rocsparseL31bsrmm_large_blockdim_kernel_extILj8ELj8ELj2Ell21rocsparse_complex_numIfES2_S2_S2_EEvb20rocsparse_direction_T3_S4_llNS_24const_host_device_scalarIT7_EEPKT2_PKS4_PKT4_S4_PKT5_llS7_PT6_ll16rocsparse_order_21rocsparse_index_base_b: ; @_ZN9rocsparseL31bsrmm_large_blockdim_kernel_extILj8ELj8ELj2Ell21rocsparse_complex_numIfES2_S2_S2_EEvb20rocsparse_direction_T3_S4_llNS_24const_host_device_scalarIT7_EEPKT2_PKS4_PKT4_S4_PKT5_llS7_PT6_ll16rocsparse_order_21rocsparse_index_base_b
; %bb.0:
	s_load_dwordx2 s[4:5], s[0:1], 0x28
	s_load_dwordx4 s[20:23], s[0:1], 0x88
	s_mov_b32 s8, s3
	s_add_u32 s3, s0, 40
	s_addc_u32 s9, s1, 0
	s_load_dwordx2 s[6:7], s[0:1], 0x68
	s_add_u32 s10, s0, 0x68
	s_addc_u32 s11, s1, 0
	s_waitcnt lgkmcnt(0)
	s_bitcmp1_b32 s22, 0
	s_cselect_b32 s3, s3, s4
	s_cselect_b32 s5, s9, s5
	v_mov_b32_e32 v2, s3
	s_cselect_b32 s3, s11, s7
	s_cselect_b32 s4, s10, s6
	v_mov_b32_e32 v3, s5
	v_mov_b32_e32 v4, s4
	;; [unrolled: 1-line block ×3, first 2 shown]
	flat_load_dwordx2 v[2:3], v[2:3]
	s_waitcnt vmcnt(0) lgkmcnt(0)
	v_cmp_eq_f32_e32 vcc, 0, v2
	flat_load_dwordx2 v[4:5], v[4:5]
	v_cmp_eq_f32_e64 s[6:7], 0, v3
	s_and_b64 s[6:7], vcc, s[6:7]
	s_waitcnt vmcnt(0) lgkmcnt(0)
	v_cmp_eq_f32_e64 s[10:11], 1.0, v4
	v_cmp_eq_f32_e64 s[4:5], 0, v5
	s_and_b64 s[10:11], s[10:11], s[4:5]
	s_and_b64 s[6:7], s[6:7], s[10:11]
	s_xor_b64 s[6:7], s[6:7], -1
	s_and_saveexec_b64 s[10:11], s[6:7]
	s_cbranch_execz .LBB32_47
; %bb.1:
	s_load_dwordx4 s[16:19], s[0:1], 0x8
	s_load_dwordx2 s[10:11], s[0:1], 0x30
	s_ashr_i32 s3, s2, 31
	v_mov_b64_e32 v[6:7], s[2:3]
	s_mov_b64 s[22:23], 0
	s_waitcnt lgkmcnt(0)
	v_cmp_le_i64_e32 vcc, s[16:17], v[6:7]
	v_cmp_gt_i64_e64 s[6:7], s[16:17], v[6:7]
	s_mov_b64 s[34:35], 0
	s_cbranch_vccnz .LBB32_3
; %bb.2:
	s_lshl_b64 s[12:13], s[2:3], 3
	s_add_u32 s12, s10, s12
	s_addc_u32 s13, s11, s13
	s_load_dwordx2 s[12:13], s[12:13], 0x0
	s_waitcnt lgkmcnt(0)
	s_sub_u32 s34, s12, s21
	s_subb_u32 s35, s13, 0
.LBB32_3:
	s_andn2_b64 vcc, exec, s[6:7]
	s_cbranch_vccnz .LBB32_5
; %bb.4:
	s_lshl_b64 s[12:13], s[2:3], 3
	s_add_u32 s10, s10, s12
	s_addc_u32 s11, s11, s13
	s_load_dwordx2 s[10:11], s[10:11], 0x8
	s_waitcnt lgkmcnt(0)
	s_sub_u32 s22, s10, s21
	s_subb_u32 s23, s11, 0
.LBB32_5:
	s_load_dwordx2 s[16:17], s[0:1], 0x70
	s_load_dwordx2 s[36:37], s[0:1], 0x48
	v_bfe_u32 v10, v0, 10, 10
	v_lshl_add_u32 v8, s8, 4, v10
	v_mov_b32_e32 v9, 0
	v_and_b32_e32 v12, 0x3ff, v0
	v_mov_b64_e32 v[0:1], s[22:23]
	v_add_u32_e32 v6, 8, v8
	v_mov_b32_e32 v7, v9
	v_mov_b32_e32 v13, v9
	v_cmp_ge_i64_e32 vcc, s[34:35], v[0:1]
	s_waitcnt lgkmcnt(0)
	v_cmp_gt_i64_e64 s[8:9], s[36:37], v[12:13]
	v_cmp_gt_i64_e64 s[10:11], s[18:19], v[8:9]
	;; [unrolled: 1-line block ×3, first 2 shown]
	s_cbranch_vccnz .LBB32_23
; %bb.6:
	s_load_dwordx4 s[28:31], s[0:1], 0x38
	s_load_dwordx2 s[40:41], s[0:1], 0x0
	s_mul_i32 s3, s36, s37
	s_mul_hi_u32 s14, s36, s36
	v_mov_b32_e32 v11, v9
	s_add_i32 s14, s14, s3
	v_cmp_gt_i64_e32 vcc, s[36:37], v[10:11]
	s_add_i32 s3, s14, s3
	s_and_b64 s[38:39], s[8:9], vcc
	s_waitcnt lgkmcnt(0)
	s_bitcmp1_b32 s40, 0
	s_cselect_b64 s[14:15], -1, 0
	s_cmp_eq_u32 s41, 0
	v_mad_u64_u32 v[16:17], s[40:41], s36, v10, 0
	v_mov_b32_e32 v18, v17
	v_lshlrev_b32_e32 v0, 3, v10
	v_lshlrev_b32_e32 v26, 6, v10
	v_mad_u64_u32 v[10:11], s[40:41], s37, v10, v[18:19]
	v_mov_b32_e32 v17, v10
	s_load_dwordx4 s[24:27], s[0:1], 0x50
	v_lshl_add_u64 v[10:11], v[16:17], 3, s[30:31]
	v_mad_u64_u32 v[16:17], s[40:41], s36, v12, 0
	v_mov_b32_e32 v18, v17
	v_mad_u64_u32 v[18:19], s[40:41], s37, v12, v[18:19]
	v_mov_b32_e32 v17, v18
	v_lshl_add_u64 v[16:17], v[16:17], 3, s[30:31]
	v_mov_b32_e32 v1, v9
	v_add_u32_e32 v24, 0x400, v0
	v_lshl_add_u64 v[0:1], v[16:17], 0, v[0:1]
	s_waitcnt lgkmcnt(0)
	v_mad_u64_u32 v[16:17], s[30:31], s26, v8, 0
	v_mov_b32_e32 v18, v17
	v_mad_u64_u32 v[18:19], s[30:31], s27, v8, v[18:19]
	v_mov_b32_e32 v17, v18
	v_mad_u64_u32 v[18:19], s[30:31], s26, v6, 0
	v_lshlrev_b32_e32 v22, 3, v12
	v_mov_b32_e32 v23, v9
	v_mov_b32_e32 v20, v19
	v_lshl_add_u64 v[10:11], v[10:11], 0, v[22:23]
	s_cselect_b64 vcc, -1, 0
	v_mad_u64_u32 v[20:21], s[30:31], s27, v6, v[20:21]
	v_lshl_add_u64 v[14:15], s[24:25], 0, v[22:23]
	v_lshlrev_b32_e32 v23, 6, v12
	v_cmp_gt_i64_e64 s[40:41], s[36:37], 0
	v_mov_b32_e32 v19, v20
	v_cndmask_b32_e32 v21, v11, v1, vcc
	v_cndmask_b32_e32 v20, v10, v0, vcc
	v_mov_b32_e32 v0, v9
	v_mov_b32_e32 v1, v9
	s_mul_i32 s33, s36, s36
	s_and_b64 s[30:31], s[10:11], s[40:41]
	s_and_b64 s[40:41], s[12:13], s[40:41]
	v_add_u32_e32 v27, 0x400, v23
	v_add_u32_e32 v28, 0x200, v26
	;; [unrolled: 1-line block ×4, first 2 shown]
	v_mov_b64_e32 v[10:11], v[0:1]
	s_branch .LBB32_9
.LBB32_7:                               ;   in Loop: Header=BB32_9 Depth=1
	s_or_b64 exec, exec, s[44:45]
.LBB32_8:                               ;   in Loop: Header=BB32_9 Depth=1
	s_or_b64 exec, exec, s[42:43]
	s_add_u32 s34, s34, 1
	s_addc_u32 s35, s35, 0
	v_mov_b64_e32 v[22:23], s[22:23]
	v_cmp_ge_i64_e32 vcc, s[34:35], v[22:23]
	; wave barrier
	s_cbranch_vccnz .LBB32_24
.LBB32_9:                               ; =>This Loop Header: Depth=1
                                        ;     Child Loop BB32_19 Depth 2
                                        ;     Child Loop BB32_22 Depth 2
	s_and_saveexec_b64 s[42:43], s[8:9]
	s_cbranch_execz .LBB32_14
; %bb.10:                               ;   in Loop: Header=BB32_9 Depth=1
	s_lshl_b64 s[44:45], s[34:35], 3
	s_add_u32 s44, s28, s44
	s_addc_u32 s45, s29, s45
	s_load_dwordx2 s[44:45], s[44:45], 0x0
	v_mov_b32_e32 v22, s36
	s_waitcnt lgkmcnt(0)
	s_sub_u32 s46, s44, s21
	s_subb_u32 s45, s45, 0
	s_mul_i32 s48, s46, s37
	s_mul_i32 s45, s45, s36
	s_mul_hi_u32 s47, s46, s36
	s_add_i32 s48, s48, s45
	s_mul_i32 s44, s46, s36
	s_add_i32 s45, s48, s47
	v_mad_u64_u32 v[22:23], s[46:47], s46, v22, v[12:13]
	v_add_u32_e32 v23, s48, v23
	v_mul_lo_u32 v24, v23, s26
	v_mul_lo_u32 v25, v22, s27
	v_mad_u64_u32 v[22:23], s[46:47], v22, s26, 0
	v_add3_u32 v23, v23, v25, v24
	v_lshl_add_u64 v[22:23], v[22:23], 3, s[24:25]
	v_lshl_add_u64 v[24:25], s[44:45], 3, v[14:15]
	s_and_saveexec_b64 s[44:45], s[10:11]
	s_cbranch_execz .LBB32_12
; %bb.11:                               ;   in Loop: Header=BB32_9 Depth=1
	v_lshl_add_u64 v[32:33], v[8:9], 3, v[22:23]
	v_lshl_add_u64 v[34:35], v[16:17], 3, v[24:25]
	v_cndmask_b32_e64 v33, v33, v35, s[14:15]
	v_cndmask_b32_e64 v32, v32, v34, s[14:15]
	global_load_dwordx2 v[32:33], v[32:33], off
	s_waitcnt vmcnt(0)
	ds_write_b64 v30, v[32:33]
.LBB32_12:                              ;   in Loop: Header=BB32_9 Depth=1
	s_or_b64 exec, exec, s[44:45]
	s_and_b64 exec, exec, s[12:13]
	s_cbranch_execz .LBB32_14
; %bb.13:                               ;   in Loop: Header=BB32_9 Depth=1
	v_lshl_add_u64 v[24:25], v[18:19], 3, v[24:25]
	v_lshl_add_u64 v[22:23], v[6:7], 3, v[22:23]
	v_cndmask_b32_e64 v23, v23, v25, s[14:15]
	v_cndmask_b32_e64 v22, v22, v24, s[14:15]
	global_load_dwordx2 v[22:23], v[22:23], off
	s_waitcnt vmcnt(0)
	ds_write_b64 v30, v[22:23] offset:512
.LBB32_14:                              ;   in Loop: Header=BB32_9 Depth=1
	s_or_b64 exec, exec, s[42:43]
	s_and_saveexec_b64 s[42:43], s[38:39]
	s_cbranch_execz .LBB32_16
; %bb.15:                               ;   in Loop: Header=BB32_9 Depth=1
	s_mul_i32 s44, s33, s35
	s_mul_hi_u32 s45, s33, s34
	s_add_i32 s44, s45, s44
	s_mul_i32 s45, s3, s34
	s_add_i32 s45, s44, s45
	s_mul_i32 s44, s33, s34
	v_lshl_add_u64 v[22:23], s[44:45], 3, v[20:21]
	global_load_dwordx2 v[22:23], v[22:23], off
	s_waitcnt vmcnt(0)
	ds_write_b64 v29, v[22:23]
.LBB32_16:                              ;   in Loop: Header=BB32_9 Depth=1
	s_or_b64 exec, exec, s[42:43]
	s_waitcnt lgkmcnt(0)
	; wave barrier
	s_and_saveexec_b64 s[42:43], s[8:9]
	s_cbranch_execz .LBB32_8
; %bb.17:                               ;   in Loop: Header=BB32_9 Depth=1
	s_and_saveexec_b64 s[44:45], s[30:31]
	s_cbranch_execz .LBB32_20
; %bb.18:                               ;   in Loop: Header=BB32_9 Depth=1
	v_mov_b32_e32 v22, v27
	v_mov_b32_e32 v23, v26
	s_mov_b64 s[46:47], s[36:37]
.LBB32_19:                              ;   Parent Loop BB32_9 Depth=1
                                        ; =>  This Inner Loop Header: Depth=2
	ds_read_b64 v[24:25], v23
	ds_read_b64 v[32:33], v22
	s_add_u32 s46, s46, -1
	s_addc_u32 s47, s47, -1
	v_add_u32_e32 v23, 8, v23
	v_add_u32_e32 v22, 8, v22
	s_waitcnt lgkmcnt(0)
	v_xor_b32_e32 v34, 0x80000000, v33
	v_pk_fma_f32 v[10:11], v[32:33], v[24:25], v[10:11] op_sel_hi:[1,0,1]
	v_mov_b32_e32 v35, v32
	s_cmp_lg_u64 s[46:47], 0
	v_pk_fma_f32 v[10:11], v[34:35], v[24:25], v[10:11] op_sel:[0,1,0]
	s_cbranch_scc1 .LBB32_19
.LBB32_20:                              ;   in Loop: Header=BB32_9 Depth=1
	s_or_b64 exec, exec, s[44:45]
	s_and_saveexec_b64 s[44:45], s[40:41]
	s_cbranch_execz .LBB32_7
; %bb.21:                               ;   in Loop: Header=BB32_9 Depth=1
	v_mov_b32_e32 v22, v27
	v_mov_b32_e32 v23, v28
	s_mov_b64 s[46:47], s[36:37]
.LBB32_22:                              ;   Parent Loop BB32_9 Depth=1
                                        ; =>  This Inner Loop Header: Depth=2
	ds_read_b64 v[24:25], v23
	ds_read_b64 v[32:33], v22
	s_add_u32 s46, s46, -1
	s_addc_u32 s47, s47, -1
	v_add_u32_e32 v23, 8, v23
	v_add_u32_e32 v22, 8, v22
	s_waitcnt lgkmcnt(0)
	v_xor_b32_e32 v34, 0x80000000, v33
	v_pk_fma_f32 v[0:1], v[32:33], v[24:25], v[0:1] op_sel_hi:[1,0,1]
	v_mov_b32_e32 v35, v32
	s_cmp_lg_u64 s[46:47], 0
	v_pk_fma_f32 v[0:1], v[34:35], v[24:25], v[0:1] op_sel:[0,1,0]
	s_cbranch_scc1 .LBB32_22
	s_branch .LBB32_7
.LBB32_23:
	v_mov_b32_e32 v10, v9
	v_mov_b32_e32 v11, v9
	v_mov_b64_e32 v[0:1], v[10:11]
.LBB32_24:
	s_and_b64 s[6:7], s[6:7], s[8:9]
	s_and_b64 exec, exec, s[6:7]
	s_cbranch_execz .LBB32_47
; %bb.25:
	v_mov_b32_e32 v14, s2
	v_mad_u64_u32 v[12:13], s[6:7], s36, v14, v[12:13]
	s_mul_i32 s2, s37, s2
	v_add_u32_e32 v13, s2, v13
	s_load_dwordx2 s[2:3], s[0:1], 0x78
	v_cmp_neq_f32_e32 vcc, 0, v4
	s_xor_b64 s[0:1], s[4:5], -1
	s_or_b64 s[4:5], vcc, s[0:1]
	s_cmp_lg_u32 s20, 1
	s_waitcnt lgkmcnt(0)
	v_mul_lo_u32 v16, s3, v12
	v_mul_lo_u32 v17, s2, v13
	v_mad_u64_u32 v[14:15], s[6:7], s2, v12, 0
	v_add3_u32 v15, v15, v17, v16
	s_cselect_b64 s[0:1], -1, 0
	v_lshl_add_u64 v[14:15], v[14:15], 3, s[16:17]
	v_lshl_add_u64 v[12:13], v[12:13], 3, s[16:17]
	v_cmp_gt_i64_e32 vcc, s[18:19], v[8:9]
	s_and_saveexec_b64 s[6:7], vcc
	s_cbranch_execz .LBB32_36
; %bb.26:
	s_and_saveexec_b64 s[8:9], s[4:5]
	s_xor_b64 s[8:9], exec, s[8:9]
	s_cbranch_execz .LBB32_31
; %bb.27:
	s_mov_b64 s[10:11], -1
	s_and_b64 vcc, exec, s[0:1]
	s_cbranch_vccz .LBB32_29
; %bb.28:
	v_lshl_add_u64 v[16:17], v[8:9], 3, v[14:15]
	global_load_dwordx2 v[18:19], v[16:17], off
	v_xor_b32_e32 v20, 0x80000000, v3
	v_mov_b32_e32 v21, v2
	v_pk_mul_f32 v[20:21], v[10:11], v[20:21] op_sel:[1,0]
	v_xor_b32_e32 v22, 0x80000000, v5
	v_pk_fma_f32 v[20:21], v[2:3], v[10:11], v[20:21] op_sel_hi:[1,0,1]
	v_mov_b32_e32 v23, v4
	s_mov_b64 s[10:11], 0
	s_waitcnt vmcnt(0)
	v_pk_fma_f32 v[20:21], v[4:5], v[18:19], v[20:21] op_sel_hi:[1,0,1]
	s_nop 0
	v_pk_fma_f32 v[18:19], v[22:23], v[18:19], v[20:21] op_sel:[0,1,0]
	global_store_dwordx2 v[16:17], v[18:19], off
.LBB32_29:
	s_andn2_b64 vcc, exec, s[10:11]
	s_cbranch_vccnz .LBB32_31
; %bb.30:
	v_mad_u64_u32 v[16:17], s[10:11], s2, v8, 0
	v_mov_b32_e32 v18, v17
	v_mad_u64_u32 v[8:9], s[10:11], s3, v8, v[18:19]
	v_mov_b32_e32 v17, v8
	v_lshl_add_u64 v[8:9], v[16:17], 3, v[12:13]
	global_load_dwordx2 v[16:17], v[8:9], off
	v_xor_b32_e32 v18, 0x80000000, v3
	v_mov_b32_e32 v19, v2
	v_pk_mul_f32 v[18:19], v[10:11], v[18:19] op_sel:[1,0]
	v_xor_b32_e32 v20, 0x80000000, v5
	v_pk_fma_f32 v[10:11], v[2:3], v[10:11], v[18:19] op_sel_hi:[1,0,1]
	v_mov_b32_e32 v21, v4
	s_waitcnt vmcnt(0)
	v_pk_fma_f32 v[10:11], v[4:5], v[16:17], v[10:11] op_sel_hi:[1,0,1]
	s_nop 0
	v_pk_fma_f32 v[10:11], v[20:21], v[16:17], v[10:11] op_sel:[0,1,0]
	global_store_dwordx2 v[8:9], v[10:11], off
                                        ; implicit-def: $vgpr8_vgpr9
                                        ; implicit-def: $vgpr10_vgpr11
.LBB32_31:
	s_andn2_saveexec_b64 s[8:9], s[8:9]
	s_cbranch_execz .LBB32_36
; %bb.32:
	v_xor_b32_e32 v16, 0x80000000, v3
	v_mov_b32_e32 v17, v2
	v_pk_mul_f32 v[16:17], v[10:11], v[16:17] op_sel:[1,0]
	s_mov_b64 s[8:9], -1
	v_pk_fma_f32 v[10:11], v[2:3], v[10:11], v[16:17] op_sel_hi:[1,0,1]
	s_and_b64 vcc, exec, s[0:1]
	s_cbranch_vccz .LBB32_34
; %bb.33:
	v_lshl_add_u64 v[16:17], v[8:9], 3, v[14:15]
	global_store_dwordx2 v[16:17], v[10:11], off
	s_mov_b64 s[8:9], 0
.LBB32_34:
	s_andn2_b64 vcc, exec, s[8:9]
	s_cbranch_vccnz .LBB32_36
; %bb.35:
	v_mad_u64_u32 v[16:17], s[8:9], s2, v8, 0
	v_mov_b32_e32 v18, v17
	v_mad_u64_u32 v[8:9], s[8:9], s3, v8, v[18:19]
	v_mov_b32_e32 v17, v8
	v_lshl_add_u64 v[8:9], v[16:17], 3, v[12:13]
	global_store_dwordx2 v[8:9], v[10:11], off
.LBB32_36:
	s_or_b64 exec, exec, s[6:7]
	v_cmp_gt_i64_e32 vcc, s[18:19], v[6:7]
	s_and_b64 exec, exec, vcc
	s_cbranch_execz .LBB32_47
; %bb.37:
	v_cndmask_b32_e64 v8, 0, 1, s[0:1]
	v_cmp_ne_u32_e64 s[0:1], 1, v8
	s_and_saveexec_b64 s[6:7], s[4:5]
	s_xor_b64 s[4:5], exec, s[6:7]
	s_cbranch_execz .LBB32_42
; %bb.38:
	s_and_b64 vcc, exec, s[0:1]
	s_mov_b64 s[6:7], -1
	s_cbranch_vccnz .LBB32_40
; %bb.39:
	v_lshl_add_u64 v[8:9], v[6:7], 3, v[14:15]
	global_load_dwordx2 v[10:11], v[8:9], off
	v_xor_b32_e32 v14, 0x80000000, v3
	v_mov_b32_e32 v15, v2
	v_pk_mul_f32 v[14:15], v[0:1], v[14:15] op_sel:[1,0]
	v_xor_b32_e32 v16, 0x80000000, v5
	v_pk_fma_f32 v[14:15], v[2:3], v[0:1], v[14:15] op_sel_hi:[1,0,1]
	v_mov_b32_e32 v17, v4
	s_mov_b64 s[6:7], 0
	s_waitcnt vmcnt(0)
	v_pk_fma_f32 v[14:15], v[4:5], v[10:11], v[14:15] op_sel_hi:[1,0,1]
	s_nop 0
	v_pk_fma_f32 v[10:11], v[16:17], v[10:11], v[14:15] op_sel:[0,1,0]
	global_store_dwordx2 v[8:9], v[10:11], off
.LBB32_40:
	s_andn2_b64 vcc, exec, s[6:7]
                                        ; implicit-def: $vgpr14_vgpr15
	s_cbranch_vccnz .LBB32_42
; %bb.41:
	v_mad_u64_u32 v[8:9], s[6:7], s2, v6, 0
	v_mov_b32_e32 v10, v9
	v_mad_u64_u32 v[6:7], s[6:7], s3, v6, v[10:11]
	v_mov_b32_e32 v9, v6
	v_lshl_add_u64 v[6:7], v[8:9], 3, v[12:13]
	global_load_dwordx2 v[8:9], v[6:7], off
	v_xor_b32_e32 v10, 0x80000000, v3
	v_mov_b32_e32 v11, v2
	v_pk_mul_f32 v[10:11], v[0:1], v[10:11] op_sel:[1,0]
	v_xor_b32_e32 v12, 0x80000000, v5
	v_pk_fma_f32 v[0:1], v[2:3], v[0:1], v[10:11] op_sel_hi:[1,0,1]
	v_mov_b32_e32 v13, v4
                                        ; implicit-def: $vgpr2_vgpr3
                                        ; implicit-def: $vgpr14_vgpr15
	s_waitcnt vmcnt(0)
	v_pk_fma_f32 v[0:1], v[4:5], v[8:9], v[0:1] op_sel_hi:[1,0,1]
	s_nop 0
	v_pk_fma_f32 v[0:1], v[12:13], v[8:9], v[0:1] op_sel:[0,1,0]
	global_store_dwordx2 v[6:7], v[0:1], off
                                        ; implicit-def: $vgpr6_vgpr7
                                        ; implicit-def: $vgpr12_vgpr13
                                        ; implicit-def: $vgpr0_vgpr1
.LBB32_42:
	s_andn2_saveexec_b64 s[4:5], s[4:5]
	s_cbranch_execz .LBB32_47
; %bb.43:
	v_xor_b32_e32 v4, 0x80000000, v3
	v_mov_b32_e32 v5, v2
	v_pk_mul_f32 v[4:5], v[0:1], v[4:5] op_sel:[1,0]
	s_and_b64 vcc, exec, s[0:1]
	v_pk_fma_f32 v[0:1], v[2:3], v[0:1], v[4:5] op_sel_hi:[1,0,1]
	s_mov_b64 s[0:1], -1
	s_cbranch_vccnz .LBB32_45
; %bb.44:
	v_lshl_add_u64 v[2:3], v[6:7], 3, v[14:15]
	s_mov_b64 s[0:1], 0
	global_store_dwordx2 v[2:3], v[0:1], off
.LBB32_45:
	s_andn2_b64 vcc, exec, s[0:1]
	s_cbranch_vccnz .LBB32_47
; %bb.46:
	v_mad_u64_u32 v[2:3], s[0:1], s2, v6, 0
	v_mov_b32_e32 v4, v3
	v_mad_u64_u32 v[4:5], s[0:1], s3, v6, v[4:5]
	v_mov_b32_e32 v3, v4
	v_lshl_add_u64 v[2:3], v[2:3], 3, v[12:13]
	global_store_dwordx2 v[2:3], v[0:1], off
.LBB32_47:
	s_endpgm
	.section	.rodata,"a",@progbits
	.p2align	6, 0x0
	.amdhsa_kernel _ZN9rocsparseL31bsrmm_large_blockdim_kernel_extILj8ELj8ELj2Ell21rocsparse_complex_numIfES2_S2_S2_EEvb20rocsparse_direction_T3_S4_llNS_24const_host_device_scalarIT7_EEPKT2_PKS4_PKT4_S4_PKT5_llS7_PT6_ll16rocsparse_order_21rocsparse_index_base_b
		.amdhsa_group_segment_fixed_size 1536
		.amdhsa_private_segment_fixed_size 0
		.amdhsa_kernarg_size 148
		.amdhsa_user_sgpr_count 2
		.amdhsa_user_sgpr_dispatch_ptr 0
		.amdhsa_user_sgpr_queue_ptr 0
		.amdhsa_user_sgpr_kernarg_segment_ptr 1
		.amdhsa_user_sgpr_dispatch_id 0
		.amdhsa_user_sgpr_kernarg_preload_length 0
		.amdhsa_user_sgpr_kernarg_preload_offset 0
		.amdhsa_user_sgpr_private_segment_size 0
		.amdhsa_uses_dynamic_stack 0
		.amdhsa_enable_private_segment 0
		.amdhsa_system_sgpr_workgroup_id_x 1
		.amdhsa_system_sgpr_workgroup_id_y 1
		.amdhsa_system_sgpr_workgroup_id_z 0
		.amdhsa_system_sgpr_workgroup_info 0
		.amdhsa_system_vgpr_workitem_id 1
		.amdhsa_next_free_vgpr 36
		.amdhsa_next_free_sgpr 49
		.amdhsa_accum_offset 36
		.amdhsa_reserve_vcc 1
		.amdhsa_float_round_mode_32 0
		.amdhsa_float_round_mode_16_64 0
		.amdhsa_float_denorm_mode_32 3
		.amdhsa_float_denorm_mode_16_64 3
		.amdhsa_dx10_clamp 1
		.amdhsa_ieee_mode 1
		.amdhsa_fp16_overflow 0
		.amdhsa_tg_split 0
		.amdhsa_exception_fp_ieee_invalid_op 0
		.amdhsa_exception_fp_denorm_src 0
		.amdhsa_exception_fp_ieee_div_zero 0
		.amdhsa_exception_fp_ieee_overflow 0
		.amdhsa_exception_fp_ieee_underflow 0
		.amdhsa_exception_fp_ieee_inexact 0
		.amdhsa_exception_int_div_zero 0
	.end_amdhsa_kernel
	.section	.text._ZN9rocsparseL31bsrmm_large_blockdim_kernel_extILj8ELj8ELj2Ell21rocsparse_complex_numIfES2_S2_S2_EEvb20rocsparse_direction_T3_S4_llNS_24const_host_device_scalarIT7_EEPKT2_PKS4_PKT4_S4_PKT5_llS7_PT6_ll16rocsparse_order_21rocsparse_index_base_b,"axG",@progbits,_ZN9rocsparseL31bsrmm_large_blockdim_kernel_extILj8ELj8ELj2Ell21rocsparse_complex_numIfES2_S2_S2_EEvb20rocsparse_direction_T3_S4_llNS_24const_host_device_scalarIT7_EEPKT2_PKS4_PKT4_S4_PKT5_llS7_PT6_ll16rocsparse_order_21rocsparse_index_base_b,comdat
.Lfunc_end32:
	.size	_ZN9rocsparseL31bsrmm_large_blockdim_kernel_extILj8ELj8ELj2Ell21rocsparse_complex_numIfES2_S2_S2_EEvb20rocsparse_direction_T3_S4_llNS_24const_host_device_scalarIT7_EEPKT2_PKS4_PKT4_S4_PKT5_llS7_PT6_ll16rocsparse_order_21rocsparse_index_base_b, .Lfunc_end32-_ZN9rocsparseL31bsrmm_large_blockdim_kernel_extILj8ELj8ELj2Ell21rocsparse_complex_numIfES2_S2_S2_EEvb20rocsparse_direction_T3_S4_llNS_24const_host_device_scalarIT7_EEPKT2_PKS4_PKT4_S4_PKT5_llS7_PT6_ll16rocsparse_order_21rocsparse_index_base_b
                                        ; -- End function
	.set _ZN9rocsparseL31bsrmm_large_blockdim_kernel_extILj8ELj8ELj2Ell21rocsparse_complex_numIfES2_S2_S2_EEvb20rocsparse_direction_T3_S4_llNS_24const_host_device_scalarIT7_EEPKT2_PKS4_PKT4_S4_PKT5_llS7_PT6_ll16rocsparse_order_21rocsparse_index_base_b.num_vgpr, 36
	.set _ZN9rocsparseL31bsrmm_large_blockdim_kernel_extILj8ELj8ELj2Ell21rocsparse_complex_numIfES2_S2_S2_EEvb20rocsparse_direction_T3_S4_llNS_24const_host_device_scalarIT7_EEPKT2_PKS4_PKT4_S4_PKT5_llS7_PT6_ll16rocsparse_order_21rocsparse_index_base_b.num_agpr, 0
	.set _ZN9rocsparseL31bsrmm_large_blockdim_kernel_extILj8ELj8ELj2Ell21rocsparse_complex_numIfES2_S2_S2_EEvb20rocsparse_direction_T3_S4_llNS_24const_host_device_scalarIT7_EEPKT2_PKS4_PKT4_S4_PKT5_llS7_PT6_ll16rocsparse_order_21rocsparse_index_base_b.numbered_sgpr, 49
	.set _ZN9rocsparseL31bsrmm_large_blockdim_kernel_extILj8ELj8ELj2Ell21rocsparse_complex_numIfES2_S2_S2_EEvb20rocsparse_direction_T3_S4_llNS_24const_host_device_scalarIT7_EEPKT2_PKS4_PKT4_S4_PKT5_llS7_PT6_ll16rocsparse_order_21rocsparse_index_base_b.num_named_barrier, 0
	.set _ZN9rocsparseL31bsrmm_large_blockdim_kernel_extILj8ELj8ELj2Ell21rocsparse_complex_numIfES2_S2_S2_EEvb20rocsparse_direction_T3_S4_llNS_24const_host_device_scalarIT7_EEPKT2_PKS4_PKT4_S4_PKT5_llS7_PT6_ll16rocsparse_order_21rocsparse_index_base_b.private_seg_size, 0
	.set _ZN9rocsparseL31bsrmm_large_blockdim_kernel_extILj8ELj8ELj2Ell21rocsparse_complex_numIfES2_S2_S2_EEvb20rocsparse_direction_T3_S4_llNS_24const_host_device_scalarIT7_EEPKT2_PKS4_PKT4_S4_PKT5_llS7_PT6_ll16rocsparse_order_21rocsparse_index_base_b.uses_vcc, 1
	.set _ZN9rocsparseL31bsrmm_large_blockdim_kernel_extILj8ELj8ELj2Ell21rocsparse_complex_numIfES2_S2_S2_EEvb20rocsparse_direction_T3_S4_llNS_24const_host_device_scalarIT7_EEPKT2_PKS4_PKT4_S4_PKT5_llS7_PT6_ll16rocsparse_order_21rocsparse_index_base_b.uses_flat_scratch, 0
	.set _ZN9rocsparseL31bsrmm_large_blockdim_kernel_extILj8ELj8ELj2Ell21rocsparse_complex_numIfES2_S2_S2_EEvb20rocsparse_direction_T3_S4_llNS_24const_host_device_scalarIT7_EEPKT2_PKS4_PKT4_S4_PKT5_llS7_PT6_ll16rocsparse_order_21rocsparse_index_base_b.has_dyn_sized_stack, 0
	.set _ZN9rocsparseL31bsrmm_large_blockdim_kernel_extILj8ELj8ELj2Ell21rocsparse_complex_numIfES2_S2_S2_EEvb20rocsparse_direction_T3_S4_llNS_24const_host_device_scalarIT7_EEPKT2_PKS4_PKT4_S4_PKT5_llS7_PT6_ll16rocsparse_order_21rocsparse_index_base_b.has_recursion, 0
	.set _ZN9rocsparseL31bsrmm_large_blockdim_kernel_extILj8ELj8ELj2Ell21rocsparse_complex_numIfES2_S2_S2_EEvb20rocsparse_direction_T3_S4_llNS_24const_host_device_scalarIT7_EEPKT2_PKS4_PKT4_S4_PKT5_llS7_PT6_ll16rocsparse_order_21rocsparse_index_base_b.has_indirect_call, 0
	.section	.AMDGPU.csdata,"",@progbits
; Kernel info:
; codeLenInByte = 2124
; TotalNumSgprs: 55
; NumVgprs: 36
; NumAgprs: 0
; TotalNumVgprs: 36
; ScratchSize: 0
; MemoryBound: 0
; FloatMode: 240
; IeeeMode: 1
; LDSByteSize: 1536 bytes/workgroup (compile time only)
; SGPRBlocks: 6
; VGPRBlocks: 4
; NumSGPRsForWavesPerEU: 55
; NumVGPRsForWavesPerEU: 36
; AccumOffset: 36
; Occupancy: 8
; WaveLimiterHint : 1
; COMPUTE_PGM_RSRC2:SCRATCH_EN: 0
; COMPUTE_PGM_RSRC2:USER_SGPR: 2
; COMPUTE_PGM_RSRC2:TRAP_HANDLER: 0
; COMPUTE_PGM_RSRC2:TGID_X_EN: 1
; COMPUTE_PGM_RSRC2:TGID_Y_EN: 1
; COMPUTE_PGM_RSRC2:TGID_Z_EN: 0
; COMPUTE_PGM_RSRC2:TIDIG_COMP_CNT: 1
; COMPUTE_PGM_RSRC3_GFX90A:ACCUM_OFFSET: 8
; COMPUTE_PGM_RSRC3_GFX90A:TG_SPLIT: 0
	.section	.text._ZN9rocsparseL31bsrmm_large_blockdim_kernel_extILj4ELj16ELj2Ell21rocsparse_complex_numIfES2_S2_S2_EEvb20rocsparse_direction_T3_S4_llNS_24const_host_device_scalarIT7_EEPKT2_PKS4_PKT4_S4_PKT5_llS7_PT6_ll16rocsparse_order_21rocsparse_index_base_b,"axG",@progbits,_ZN9rocsparseL31bsrmm_large_blockdim_kernel_extILj4ELj16ELj2Ell21rocsparse_complex_numIfES2_S2_S2_EEvb20rocsparse_direction_T3_S4_llNS_24const_host_device_scalarIT7_EEPKT2_PKS4_PKT4_S4_PKT5_llS7_PT6_ll16rocsparse_order_21rocsparse_index_base_b,comdat
	.globl	_ZN9rocsparseL31bsrmm_large_blockdim_kernel_extILj4ELj16ELj2Ell21rocsparse_complex_numIfES2_S2_S2_EEvb20rocsparse_direction_T3_S4_llNS_24const_host_device_scalarIT7_EEPKT2_PKS4_PKT4_S4_PKT5_llS7_PT6_ll16rocsparse_order_21rocsparse_index_base_b ; -- Begin function _ZN9rocsparseL31bsrmm_large_blockdim_kernel_extILj4ELj16ELj2Ell21rocsparse_complex_numIfES2_S2_S2_EEvb20rocsparse_direction_T3_S4_llNS_24const_host_device_scalarIT7_EEPKT2_PKS4_PKT4_S4_PKT5_llS7_PT6_ll16rocsparse_order_21rocsparse_index_base_b
	.p2align	8
	.type	_ZN9rocsparseL31bsrmm_large_blockdim_kernel_extILj4ELj16ELj2Ell21rocsparse_complex_numIfES2_S2_S2_EEvb20rocsparse_direction_T3_S4_llNS_24const_host_device_scalarIT7_EEPKT2_PKS4_PKT4_S4_PKT5_llS7_PT6_ll16rocsparse_order_21rocsparse_index_base_b,@function
_ZN9rocsparseL31bsrmm_large_blockdim_kernel_extILj4ELj16ELj2Ell21rocsparse_complex_numIfES2_S2_S2_EEvb20rocsparse_direction_T3_S4_llNS_24const_host_device_scalarIT7_EEPKT2_PKS4_PKT4_S4_PKT5_llS7_PT6_ll16rocsparse_order_21rocsparse_index_base_b: ; @_ZN9rocsparseL31bsrmm_large_blockdim_kernel_extILj4ELj16ELj2Ell21rocsparse_complex_numIfES2_S2_S2_EEvb20rocsparse_direction_T3_S4_llNS_24const_host_device_scalarIT7_EEPKT2_PKS4_PKT4_S4_PKT5_llS7_PT6_ll16rocsparse_order_21rocsparse_index_base_b
; %bb.0:
	s_load_dwordx2 s[4:5], s[0:1], 0x28
	s_load_dwordx4 s[20:23], s[0:1], 0x88
	s_mov_b32 s8, s3
	s_add_u32 s3, s0, 40
	s_addc_u32 s9, s1, 0
	s_load_dwordx2 s[6:7], s[0:1], 0x68
	s_add_u32 s10, s0, 0x68
	s_addc_u32 s11, s1, 0
	s_waitcnt lgkmcnt(0)
	s_bitcmp1_b32 s22, 0
	s_cselect_b32 s3, s3, s4
	s_cselect_b32 s5, s9, s5
	v_mov_b32_e32 v2, s3
	s_cselect_b32 s3, s11, s7
	s_cselect_b32 s4, s10, s6
	v_mov_b32_e32 v3, s5
	v_mov_b32_e32 v4, s4
	v_mov_b32_e32 v5, s3
	flat_load_dwordx2 v[2:3], v[2:3]
	s_waitcnt vmcnt(0) lgkmcnt(0)
	v_cmp_eq_f32_e32 vcc, 0, v2
	flat_load_dwordx2 v[4:5], v[4:5]
	v_cmp_eq_f32_e64 s[6:7], 0, v3
	s_and_b64 s[6:7], vcc, s[6:7]
	s_waitcnt vmcnt(0) lgkmcnt(0)
	v_cmp_eq_f32_e64 s[10:11], 1.0, v4
	v_cmp_eq_f32_e64 s[4:5], 0, v5
	s_and_b64 s[10:11], s[10:11], s[4:5]
	s_and_b64 s[6:7], s[6:7], s[10:11]
	s_xor_b64 s[6:7], s[6:7], -1
	s_and_saveexec_b64 s[10:11], s[6:7]
	s_cbranch_execz .LBB33_47
; %bb.1:
	s_load_dwordx4 s[16:19], s[0:1], 0x8
	s_load_dwordx2 s[10:11], s[0:1], 0x30
	s_ashr_i32 s3, s2, 31
	v_mov_b64_e32 v[6:7], s[2:3]
	s_mov_b64 s[22:23], 0
	s_waitcnt lgkmcnt(0)
	v_cmp_le_i64_e32 vcc, s[16:17], v[6:7]
	v_cmp_gt_i64_e64 s[6:7], s[16:17], v[6:7]
	s_mov_b64 s[34:35], 0
	s_cbranch_vccnz .LBB33_3
; %bb.2:
	s_lshl_b64 s[12:13], s[2:3], 3
	s_add_u32 s12, s10, s12
	s_addc_u32 s13, s11, s13
	s_load_dwordx2 s[12:13], s[12:13], 0x0
	s_waitcnt lgkmcnt(0)
	s_sub_u32 s34, s12, s21
	s_subb_u32 s35, s13, 0
.LBB33_3:
	s_andn2_b64 vcc, exec, s[6:7]
	s_cbranch_vccnz .LBB33_5
; %bb.4:
	s_lshl_b64 s[12:13], s[2:3], 3
	s_add_u32 s10, s10, s12
	s_addc_u32 s11, s11, s13
	s_load_dwordx2 s[10:11], s[10:11], 0x8
	s_waitcnt lgkmcnt(0)
	s_sub_u32 s22, s10, s21
	s_subb_u32 s23, s11, 0
.LBB33_5:
	s_load_dwordx2 s[16:17], s[0:1], 0x70
	s_load_dwordx2 s[36:37], s[0:1], 0x48
	v_bfe_u32 v10, v0, 10, 10
	v_lshl_add_u32 v8, s8, 5, v10
	v_mov_b32_e32 v9, 0
	v_and_b32_e32 v12, 0x3ff, v0
	v_mov_b64_e32 v[0:1], s[22:23]
	v_add_u32_e32 v6, 16, v8
	v_mov_b32_e32 v7, v9
	v_mov_b32_e32 v13, v9
	v_cmp_ge_i64_e32 vcc, s[34:35], v[0:1]
	s_waitcnt lgkmcnt(0)
	v_cmp_gt_i64_e64 s[8:9], s[36:37], v[12:13]
	v_cmp_gt_i64_e64 s[10:11], s[18:19], v[8:9]
	;; [unrolled: 1-line block ×3, first 2 shown]
	s_cbranch_vccnz .LBB33_23
; %bb.6:
	s_load_dwordx4 s[28:31], s[0:1], 0x38
	s_load_dwordx2 s[40:41], s[0:1], 0x0
	s_mul_i32 s3, s36, s37
	s_mul_hi_u32 s14, s36, s36
	v_mov_b32_e32 v11, v9
	s_add_i32 s14, s14, s3
	v_cmp_gt_i64_e32 vcc, s[36:37], v[10:11]
	s_add_i32 s3, s14, s3
	s_and_b64 s[38:39], s[8:9], vcc
	s_waitcnt lgkmcnt(0)
	s_bitcmp1_b32 s40, 0
	s_cselect_b64 s[14:15], -1, 0
	s_cmp_eq_u32 s41, 0
	v_mad_u64_u32 v[16:17], s[40:41], s36, v10, 0
	v_mov_b32_e32 v18, v17
	v_lshlrev_b32_e32 v0, 3, v10
	v_lshlrev_b32_e32 v26, 5, v10
	v_mad_u64_u32 v[10:11], s[40:41], s37, v10, v[18:19]
	v_mov_b32_e32 v17, v10
	s_load_dwordx4 s[24:27], s[0:1], 0x50
	v_lshl_add_u64 v[10:11], v[16:17], 3, s[30:31]
	v_mad_u64_u32 v[16:17], s[40:41], s36, v12, 0
	v_mov_b32_e32 v18, v17
	v_mad_u64_u32 v[18:19], s[40:41], s37, v12, v[18:19]
	v_mov_b32_e32 v17, v18
	v_lshl_add_u64 v[16:17], v[16:17], 3, s[30:31]
	v_mov_b32_e32 v1, v9
	v_add_u32_e32 v24, 0x400, v0
	v_lshl_add_u64 v[0:1], v[16:17], 0, v[0:1]
	s_waitcnt lgkmcnt(0)
	v_mad_u64_u32 v[16:17], s[30:31], s26, v8, 0
	v_mov_b32_e32 v18, v17
	v_mad_u64_u32 v[18:19], s[30:31], s27, v8, v[18:19]
	v_mov_b32_e32 v17, v18
	v_mad_u64_u32 v[18:19], s[30:31], s26, v6, 0
	v_lshlrev_b32_e32 v22, 3, v12
	v_mov_b32_e32 v23, v9
	v_mov_b32_e32 v20, v19
	v_lshl_add_u64 v[10:11], v[10:11], 0, v[22:23]
	s_cselect_b64 vcc, -1, 0
	v_mad_u64_u32 v[20:21], s[30:31], s27, v6, v[20:21]
	v_lshl_add_u64 v[14:15], s[24:25], 0, v[22:23]
	v_lshlrev_b32_e32 v23, 5, v12
	v_cmp_gt_i64_e64 s[40:41], s[36:37], 0
	v_mov_b32_e32 v19, v20
	v_cndmask_b32_e32 v21, v11, v1, vcc
	v_cndmask_b32_e32 v20, v10, v0, vcc
	v_mov_b32_e32 v0, v9
	v_mov_b32_e32 v1, v9
	s_mul_i32 s33, s36, s36
	s_and_b64 s[30:31], s[10:11], s[40:41]
	s_and_b64 s[40:41], s[12:13], s[40:41]
	v_add_u32_e32 v27, 0x400, v23
	v_add_u32_e32 v28, 0x200, v26
	;; [unrolled: 1-line block ×4, first 2 shown]
	v_mov_b64_e32 v[10:11], v[0:1]
	s_branch .LBB33_9
.LBB33_7:                               ;   in Loop: Header=BB33_9 Depth=1
	s_or_b64 exec, exec, s[44:45]
.LBB33_8:                               ;   in Loop: Header=BB33_9 Depth=1
	s_or_b64 exec, exec, s[42:43]
	s_add_u32 s34, s34, 1
	s_addc_u32 s35, s35, 0
	v_mov_b64_e32 v[22:23], s[22:23]
	v_cmp_ge_i64_e32 vcc, s[34:35], v[22:23]
	; wave barrier
	s_cbranch_vccnz .LBB33_24
.LBB33_9:                               ; =>This Loop Header: Depth=1
                                        ;     Child Loop BB33_19 Depth 2
                                        ;     Child Loop BB33_22 Depth 2
	s_and_saveexec_b64 s[42:43], s[8:9]
	s_cbranch_execz .LBB33_14
; %bb.10:                               ;   in Loop: Header=BB33_9 Depth=1
	s_lshl_b64 s[44:45], s[34:35], 3
	s_add_u32 s44, s28, s44
	s_addc_u32 s45, s29, s45
	s_load_dwordx2 s[44:45], s[44:45], 0x0
	v_mov_b32_e32 v22, s36
	s_waitcnt lgkmcnt(0)
	s_sub_u32 s46, s44, s21
	s_subb_u32 s45, s45, 0
	s_mul_i32 s48, s46, s37
	s_mul_i32 s45, s45, s36
	s_mul_hi_u32 s47, s46, s36
	s_add_i32 s48, s48, s45
	s_mul_i32 s44, s46, s36
	s_add_i32 s45, s48, s47
	v_mad_u64_u32 v[22:23], s[46:47], s46, v22, v[12:13]
	v_add_u32_e32 v23, s48, v23
	v_mul_lo_u32 v24, v23, s26
	v_mul_lo_u32 v25, v22, s27
	v_mad_u64_u32 v[22:23], s[46:47], v22, s26, 0
	v_add3_u32 v23, v23, v25, v24
	v_lshl_add_u64 v[22:23], v[22:23], 3, s[24:25]
	v_lshl_add_u64 v[24:25], s[44:45], 3, v[14:15]
	s_and_saveexec_b64 s[44:45], s[10:11]
	s_cbranch_execz .LBB33_12
; %bb.11:                               ;   in Loop: Header=BB33_9 Depth=1
	v_lshl_add_u64 v[32:33], v[8:9], 3, v[22:23]
	v_lshl_add_u64 v[34:35], v[16:17], 3, v[24:25]
	v_cndmask_b32_e64 v33, v33, v35, s[14:15]
	v_cndmask_b32_e64 v32, v32, v34, s[14:15]
	global_load_dwordx2 v[32:33], v[32:33], off
	s_waitcnt vmcnt(0)
	ds_write_b64 v30, v[32:33]
.LBB33_12:                              ;   in Loop: Header=BB33_9 Depth=1
	s_or_b64 exec, exec, s[44:45]
	s_and_b64 exec, exec, s[12:13]
	s_cbranch_execz .LBB33_14
; %bb.13:                               ;   in Loop: Header=BB33_9 Depth=1
	v_lshl_add_u64 v[24:25], v[18:19], 3, v[24:25]
	v_lshl_add_u64 v[22:23], v[6:7], 3, v[22:23]
	v_cndmask_b32_e64 v23, v23, v25, s[14:15]
	v_cndmask_b32_e64 v22, v22, v24, s[14:15]
	global_load_dwordx2 v[22:23], v[22:23], off
	s_waitcnt vmcnt(0)
	ds_write_b64 v30, v[22:23] offset:512
.LBB33_14:                              ;   in Loop: Header=BB33_9 Depth=1
	s_or_b64 exec, exec, s[42:43]
	s_and_saveexec_b64 s[42:43], s[38:39]
	s_cbranch_execz .LBB33_16
; %bb.15:                               ;   in Loop: Header=BB33_9 Depth=1
	s_mul_i32 s44, s33, s35
	s_mul_hi_u32 s45, s33, s34
	s_add_i32 s44, s45, s44
	s_mul_i32 s45, s3, s34
	s_add_i32 s45, s44, s45
	s_mul_i32 s44, s33, s34
	v_lshl_add_u64 v[22:23], s[44:45], 3, v[20:21]
	global_load_dwordx2 v[22:23], v[22:23], off
	s_waitcnt vmcnt(0)
	ds_write_b64 v29, v[22:23]
.LBB33_16:                              ;   in Loop: Header=BB33_9 Depth=1
	s_or_b64 exec, exec, s[42:43]
	s_waitcnt lgkmcnt(0)
	; wave barrier
	s_and_saveexec_b64 s[42:43], s[8:9]
	s_cbranch_execz .LBB33_8
; %bb.17:                               ;   in Loop: Header=BB33_9 Depth=1
	s_and_saveexec_b64 s[44:45], s[30:31]
	s_cbranch_execz .LBB33_20
; %bb.18:                               ;   in Loop: Header=BB33_9 Depth=1
	v_mov_b32_e32 v22, v27
	v_mov_b32_e32 v23, v26
	s_mov_b64 s[46:47], s[36:37]
.LBB33_19:                              ;   Parent Loop BB33_9 Depth=1
                                        ; =>  This Inner Loop Header: Depth=2
	ds_read_b64 v[24:25], v23
	ds_read_b64 v[32:33], v22
	s_add_u32 s46, s46, -1
	s_addc_u32 s47, s47, -1
	v_add_u32_e32 v23, 8, v23
	v_add_u32_e32 v22, 8, v22
	s_waitcnt lgkmcnt(0)
	v_xor_b32_e32 v34, 0x80000000, v33
	v_pk_fma_f32 v[10:11], v[32:33], v[24:25], v[10:11] op_sel_hi:[1,0,1]
	v_mov_b32_e32 v35, v32
	s_cmp_lg_u64 s[46:47], 0
	v_pk_fma_f32 v[10:11], v[34:35], v[24:25], v[10:11] op_sel:[0,1,0]
	s_cbranch_scc1 .LBB33_19
.LBB33_20:                              ;   in Loop: Header=BB33_9 Depth=1
	s_or_b64 exec, exec, s[44:45]
	s_and_saveexec_b64 s[44:45], s[40:41]
	s_cbranch_execz .LBB33_7
; %bb.21:                               ;   in Loop: Header=BB33_9 Depth=1
	v_mov_b32_e32 v22, v27
	v_mov_b32_e32 v23, v28
	s_mov_b64 s[46:47], s[36:37]
.LBB33_22:                              ;   Parent Loop BB33_9 Depth=1
                                        ; =>  This Inner Loop Header: Depth=2
	ds_read_b64 v[24:25], v23
	ds_read_b64 v[32:33], v22
	s_add_u32 s46, s46, -1
	s_addc_u32 s47, s47, -1
	v_add_u32_e32 v23, 8, v23
	v_add_u32_e32 v22, 8, v22
	s_waitcnt lgkmcnt(0)
	v_xor_b32_e32 v34, 0x80000000, v33
	v_pk_fma_f32 v[0:1], v[32:33], v[24:25], v[0:1] op_sel_hi:[1,0,1]
	v_mov_b32_e32 v35, v32
	s_cmp_lg_u64 s[46:47], 0
	v_pk_fma_f32 v[0:1], v[34:35], v[24:25], v[0:1] op_sel:[0,1,0]
	s_cbranch_scc1 .LBB33_22
	s_branch .LBB33_7
.LBB33_23:
	v_mov_b32_e32 v10, v9
	v_mov_b32_e32 v11, v9
	v_mov_b64_e32 v[0:1], v[10:11]
.LBB33_24:
	s_and_b64 s[6:7], s[6:7], s[8:9]
	s_and_b64 exec, exec, s[6:7]
	s_cbranch_execz .LBB33_47
; %bb.25:
	v_mov_b32_e32 v14, s2
	v_mad_u64_u32 v[12:13], s[6:7], s36, v14, v[12:13]
	s_mul_i32 s2, s37, s2
	v_add_u32_e32 v13, s2, v13
	s_load_dwordx2 s[2:3], s[0:1], 0x78
	v_cmp_neq_f32_e32 vcc, 0, v4
	s_xor_b64 s[0:1], s[4:5], -1
	s_or_b64 s[4:5], vcc, s[0:1]
	s_cmp_lg_u32 s20, 1
	s_waitcnt lgkmcnt(0)
	v_mul_lo_u32 v16, s3, v12
	v_mul_lo_u32 v17, s2, v13
	v_mad_u64_u32 v[14:15], s[6:7], s2, v12, 0
	v_add3_u32 v15, v15, v17, v16
	s_cselect_b64 s[0:1], -1, 0
	v_lshl_add_u64 v[14:15], v[14:15], 3, s[16:17]
	v_lshl_add_u64 v[12:13], v[12:13], 3, s[16:17]
	v_cmp_gt_i64_e32 vcc, s[18:19], v[8:9]
	s_and_saveexec_b64 s[6:7], vcc
	s_cbranch_execz .LBB33_36
; %bb.26:
	s_and_saveexec_b64 s[8:9], s[4:5]
	s_xor_b64 s[8:9], exec, s[8:9]
	s_cbranch_execz .LBB33_31
; %bb.27:
	s_mov_b64 s[10:11], -1
	s_and_b64 vcc, exec, s[0:1]
	s_cbranch_vccz .LBB33_29
; %bb.28:
	v_lshl_add_u64 v[16:17], v[8:9], 3, v[14:15]
	global_load_dwordx2 v[18:19], v[16:17], off
	v_xor_b32_e32 v20, 0x80000000, v3
	v_mov_b32_e32 v21, v2
	v_pk_mul_f32 v[20:21], v[10:11], v[20:21] op_sel:[1,0]
	v_xor_b32_e32 v22, 0x80000000, v5
	v_pk_fma_f32 v[20:21], v[2:3], v[10:11], v[20:21] op_sel_hi:[1,0,1]
	v_mov_b32_e32 v23, v4
	s_mov_b64 s[10:11], 0
	s_waitcnt vmcnt(0)
	v_pk_fma_f32 v[20:21], v[4:5], v[18:19], v[20:21] op_sel_hi:[1,0,1]
	s_nop 0
	v_pk_fma_f32 v[18:19], v[22:23], v[18:19], v[20:21] op_sel:[0,1,0]
	global_store_dwordx2 v[16:17], v[18:19], off
.LBB33_29:
	s_andn2_b64 vcc, exec, s[10:11]
	s_cbranch_vccnz .LBB33_31
; %bb.30:
	v_mad_u64_u32 v[16:17], s[10:11], s2, v8, 0
	v_mov_b32_e32 v18, v17
	v_mad_u64_u32 v[8:9], s[10:11], s3, v8, v[18:19]
	v_mov_b32_e32 v17, v8
	v_lshl_add_u64 v[8:9], v[16:17], 3, v[12:13]
	global_load_dwordx2 v[16:17], v[8:9], off
	v_xor_b32_e32 v18, 0x80000000, v3
	v_mov_b32_e32 v19, v2
	v_pk_mul_f32 v[18:19], v[10:11], v[18:19] op_sel:[1,0]
	v_xor_b32_e32 v20, 0x80000000, v5
	v_pk_fma_f32 v[10:11], v[2:3], v[10:11], v[18:19] op_sel_hi:[1,0,1]
	v_mov_b32_e32 v21, v4
	s_waitcnt vmcnt(0)
	v_pk_fma_f32 v[10:11], v[4:5], v[16:17], v[10:11] op_sel_hi:[1,0,1]
	s_nop 0
	v_pk_fma_f32 v[10:11], v[20:21], v[16:17], v[10:11] op_sel:[0,1,0]
	global_store_dwordx2 v[8:9], v[10:11], off
                                        ; implicit-def: $vgpr8_vgpr9
                                        ; implicit-def: $vgpr10_vgpr11
.LBB33_31:
	s_andn2_saveexec_b64 s[8:9], s[8:9]
	s_cbranch_execz .LBB33_36
; %bb.32:
	v_xor_b32_e32 v16, 0x80000000, v3
	v_mov_b32_e32 v17, v2
	v_pk_mul_f32 v[16:17], v[10:11], v[16:17] op_sel:[1,0]
	s_mov_b64 s[8:9], -1
	v_pk_fma_f32 v[10:11], v[2:3], v[10:11], v[16:17] op_sel_hi:[1,0,1]
	s_and_b64 vcc, exec, s[0:1]
	s_cbranch_vccz .LBB33_34
; %bb.33:
	v_lshl_add_u64 v[16:17], v[8:9], 3, v[14:15]
	global_store_dwordx2 v[16:17], v[10:11], off
	s_mov_b64 s[8:9], 0
.LBB33_34:
	s_andn2_b64 vcc, exec, s[8:9]
	s_cbranch_vccnz .LBB33_36
; %bb.35:
	v_mad_u64_u32 v[16:17], s[8:9], s2, v8, 0
	v_mov_b32_e32 v18, v17
	v_mad_u64_u32 v[8:9], s[8:9], s3, v8, v[18:19]
	v_mov_b32_e32 v17, v8
	v_lshl_add_u64 v[8:9], v[16:17], 3, v[12:13]
	global_store_dwordx2 v[8:9], v[10:11], off
.LBB33_36:
	s_or_b64 exec, exec, s[6:7]
	v_cmp_gt_i64_e32 vcc, s[18:19], v[6:7]
	s_and_b64 exec, exec, vcc
	s_cbranch_execz .LBB33_47
; %bb.37:
	v_cndmask_b32_e64 v8, 0, 1, s[0:1]
	v_cmp_ne_u32_e64 s[0:1], 1, v8
	s_and_saveexec_b64 s[6:7], s[4:5]
	s_xor_b64 s[4:5], exec, s[6:7]
	s_cbranch_execz .LBB33_42
; %bb.38:
	s_and_b64 vcc, exec, s[0:1]
	s_mov_b64 s[6:7], -1
	s_cbranch_vccnz .LBB33_40
; %bb.39:
	v_lshl_add_u64 v[8:9], v[6:7], 3, v[14:15]
	global_load_dwordx2 v[10:11], v[8:9], off
	v_xor_b32_e32 v14, 0x80000000, v3
	v_mov_b32_e32 v15, v2
	v_pk_mul_f32 v[14:15], v[0:1], v[14:15] op_sel:[1,0]
	v_xor_b32_e32 v16, 0x80000000, v5
	v_pk_fma_f32 v[14:15], v[2:3], v[0:1], v[14:15] op_sel_hi:[1,0,1]
	v_mov_b32_e32 v17, v4
	s_mov_b64 s[6:7], 0
	s_waitcnt vmcnt(0)
	v_pk_fma_f32 v[14:15], v[4:5], v[10:11], v[14:15] op_sel_hi:[1,0,1]
	s_nop 0
	v_pk_fma_f32 v[10:11], v[16:17], v[10:11], v[14:15] op_sel:[0,1,0]
	global_store_dwordx2 v[8:9], v[10:11], off
.LBB33_40:
	s_andn2_b64 vcc, exec, s[6:7]
                                        ; implicit-def: $vgpr14_vgpr15
	s_cbranch_vccnz .LBB33_42
; %bb.41:
	v_mad_u64_u32 v[8:9], s[6:7], s2, v6, 0
	v_mov_b32_e32 v10, v9
	v_mad_u64_u32 v[6:7], s[6:7], s3, v6, v[10:11]
	v_mov_b32_e32 v9, v6
	v_lshl_add_u64 v[6:7], v[8:9], 3, v[12:13]
	global_load_dwordx2 v[8:9], v[6:7], off
	v_xor_b32_e32 v10, 0x80000000, v3
	v_mov_b32_e32 v11, v2
	v_pk_mul_f32 v[10:11], v[0:1], v[10:11] op_sel:[1,0]
	v_xor_b32_e32 v12, 0x80000000, v5
	v_pk_fma_f32 v[0:1], v[2:3], v[0:1], v[10:11] op_sel_hi:[1,0,1]
	v_mov_b32_e32 v13, v4
                                        ; implicit-def: $vgpr2_vgpr3
                                        ; implicit-def: $vgpr14_vgpr15
	s_waitcnt vmcnt(0)
	v_pk_fma_f32 v[0:1], v[4:5], v[8:9], v[0:1] op_sel_hi:[1,0,1]
	s_nop 0
	v_pk_fma_f32 v[0:1], v[12:13], v[8:9], v[0:1] op_sel:[0,1,0]
	global_store_dwordx2 v[6:7], v[0:1], off
                                        ; implicit-def: $vgpr6_vgpr7
                                        ; implicit-def: $vgpr12_vgpr13
                                        ; implicit-def: $vgpr0_vgpr1
.LBB33_42:
	s_andn2_saveexec_b64 s[4:5], s[4:5]
	s_cbranch_execz .LBB33_47
; %bb.43:
	v_xor_b32_e32 v4, 0x80000000, v3
	v_mov_b32_e32 v5, v2
	v_pk_mul_f32 v[4:5], v[0:1], v[4:5] op_sel:[1,0]
	s_and_b64 vcc, exec, s[0:1]
	v_pk_fma_f32 v[0:1], v[2:3], v[0:1], v[4:5] op_sel_hi:[1,0,1]
	s_mov_b64 s[0:1], -1
	s_cbranch_vccnz .LBB33_45
; %bb.44:
	v_lshl_add_u64 v[2:3], v[6:7], 3, v[14:15]
	s_mov_b64 s[0:1], 0
	global_store_dwordx2 v[2:3], v[0:1], off
.LBB33_45:
	s_andn2_b64 vcc, exec, s[0:1]
	s_cbranch_vccnz .LBB33_47
; %bb.46:
	v_mad_u64_u32 v[2:3], s[0:1], s2, v6, 0
	v_mov_b32_e32 v4, v3
	v_mad_u64_u32 v[4:5], s[0:1], s3, v6, v[4:5]
	v_mov_b32_e32 v3, v4
	v_lshl_add_u64 v[2:3], v[2:3], 3, v[12:13]
	global_store_dwordx2 v[2:3], v[0:1], off
.LBB33_47:
	s_endpgm
	.section	.rodata,"a",@progbits
	.p2align	6, 0x0
	.amdhsa_kernel _ZN9rocsparseL31bsrmm_large_blockdim_kernel_extILj4ELj16ELj2Ell21rocsparse_complex_numIfES2_S2_S2_EEvb20rocsparse_direction_T3_S4_llNS_24const_host_device_scalarIT7_EEPKT2_PKS4_PKT4_S4_PKT5_llS7_PT6_ll16rocsparse_order_21rocsparse_index_base_b
		.amdhsa_group_segment_fixed_size 1152
		.amdhsa_private_segment_fixed_size 0
		.amdhsa_kernarg_size 148
		.amdhsa_user_sgpr_count 2
		.amdhsa_user_sgpr_dispatch_ptr 0
		.amdhsa_user_sgpr_queue_ptr 0
		.amdhsa_user_sgpr_kernarg_segment_ptr 1
		.amdhsa_user_sgpr_dispatch_id 0
		.amdhsa_user_sgpr_kernarg_preload_length 0
		.amdhsa_user_sgpr_kernarg_preload_offset 0
		.amdhsa_user_sgpr_private_segment_size 0
		.amdhsa_uses_dynamic_stack 0
		.amdhsa_enable_private_segment 0
		.amdhsa_system_sgpr_workgroup_id_x 1
		.amdhsa_system_sgpr_workgroup_id_y 1
		.amdhsa_system_sgpr_workgroup_id_z 0
		.amdhsa_system_sgpr_workgroup_info 0
		.amdhsa_system_vgpr_workitem_id 1
		.amdhsa_next_free_vgpr 36
		.amdhsa_next_free_sgpr 49
		.amdhsa_accum_offset 36
		.amdhsa_reserve_vcc 1
		.amdhsa_float_round_mode_32 0
		.amdhsa_float_round_mode_16_64 0
		.amdhsa_float_denorm_mode_32 3
		.amdhsa_float_denorm_mode_16_64 3
		.amdhsa_dx10_clamp 1
		.amdhsa_ieee_mode 1
		.amdhsa_fp16_overflow 0
		.amdhsa_tg_split 0
		.amdhsa_exception_fp_ieee_invalid_op 0
		.amdhsa_exception_fp_denorm_src 0
		.amdhsa_exception_fp_ieee_div_zero 0
		.amdhsa_exception_fp_ieee_overflow 0
		.amdhsa_exception_fp_ieee_underflow 0
		.amdhsa_exception_fp_ieee_inexact 0
		.amdhsa_exception_int_div_zero 0
	.end_amdhsa_kernel
	.section	.text._ZN9rocsparseL31bsrmm_large_blockdim_kernel_extILj4ELj16ELj2Ell21rocsparse_complex_numIfES2_S2_S2_EEvb20rocsparse_direction_T3_S4_llNS_24const_host_device_scalarIT7_EEPKT2_PKS4_PKT4_S4_PKT5_llS7_PT6_ll16rocsparse_order_21rocsparse_index_base_b,"axG",@progbits,_ZN9rocsparseL31bsrmm_large_blockdim_kernel_extILj4ELj16ELj2Ell21rocsparse_complex_numIfES2_S2_S2_EEvb20rocsparse_direction_T3_S4_llNS_24const_host_device_scalarIT7_EEPKT2_PKS4_PKT4_S4_PKT5_llS7_PT6_ll16rocsparse_order_21rocsparse_index_base_b,comdat
.Lfunc_end33:
	.size	_ZN9rocsparseL31bsrmm_large_blockdim_kernel_extILj4ELj16ELj2Ell21rocsparse_complex_numIfES2_S2_S2_EEvb20rocsparse_direction_T3_S4_llNS_24const_host_device_scalarIT7_EEPKT2_PKS4_PKT4_S4_PKT5_llS7_PT6_ll16rocsparse_order_21rocsparse_index_base_b, .Lfunc_end33-_ZN9rocsparseL31bsrmm_large_blockdim_kernel_extILj4ELj16ELj2Ell21rocsparse_complex_numIfES2_S2_S2_EEvb20rocsparse_direction_T3_S4_llNS_24const_host_device_scalarIT7_EEPKT2_PKS4_PKT4_S4_PKT5_llS7_PT6_ll16rocsparse_order_21rocsparse_index_base_b
                                        ; -- End function
	.set _ZN9rocsparseL31bsrmm_large_blockdim_kernel_extILj4ELj16ELj2Ell21rocsparse_complex_numIfES2_S2_S2_EEvb20rocsparse_direction_T3_S4_llNS_24const_host_device_scalarIT7_EEPKT2_PKS4_PKT4_S4_PKT5_llS7_PT6_ll16rocsparse_order_21rocsparse_index_base_b.num_vgpr, 36
	.set _ZN9rocsparseL31bsrmm_large_blockdim_kernel_extILj4ELj16ELj2Ell21rocsparse_complex_numIfES2_S2_S2_EEvb20rocsparse_direction_T3_S4_llNS_24const_host_device_scalarIT7_EEPKT2_PKS4_PKT4_S4_PKT5_llS7_PT6_ll16rocsparse_order_21rocsparse_index_base_b.num_agpr, 0
	.set _ZN9rocsparseL31bsrmm_large_blockdim_kernel_extILj4ELj16ELj2Ell21rocsparse_complex_numIfES2_S2_S2_EEvb20rocsparse_direction_T3_S4_llNS_24const_host_device_scalarIT7_EEPKT2_PKS4_PKT4_S4_PKT5_llS7_PT6_ll16rocsparse_order_21rocsparse_index_base_b.numbered_sgpr, 49
	.set _ZN9rocsparseL31bsrmm_large_blockdim_kernel_extILj4ELj16ELj2Ell21rocsparse_complex_numIfES2_S2_S2_EEvb20rocsparse_direction_T3_S4_llNS_24const_host_device_scalarIT7_EEPKT2_PKS4_PKT4_S4_PKT5_llS7_PT6_ll16rocsparse_order_21rocsparse_index_base_b.num_named_barrier, 0
	.set _ZN9rocsparseL31bsrmm_large_blockdim_kernel_extILj4ELj16ELj2Ell21rocsparse_complex_numIfES2_S2_S2_EEvb20rocsparse_direction_T3_S4_llNS_24const_host_device_scalarIT7_EEPKT2_PKS4_PKT4_S4_PKT5_llS7_PT6_ll16rocsparse_order_21rocsparse_index_base_b.private_seg_size, 0
	.set _ZN9rocsparseL31bsrmm_large_blockdim_kernel_extILj4ELj16ELj2Ell21rocsparse_complex_numIfES2_S2_S2_EEvb20rocsparse_direction_T3_S4_llNS_24const_host_device_scalarIT7_EEPKT2_PKS4_PKT4_S4_PKT5_llS7_PT6_ll16rocsparse_order_21rocsparse_index_base_b.uses_vcc, 1
	.set _ZN9rocsparseL31bsrmm_large_blockdim_kernel_extILj4ELj16ELj2Ell21rocsparse_complex_numIfES2_S2_S2_EEvb20rocsparse_direction_T3_S4_llNS_24const_host_device_scalarIT7_EEPKT2_PKS4_PKT4_S4_PKT5_llS7_PT6_ll16rocsparse_order_21rocsparse_index_base_b.uses_flat_scratch, 0
	.set _ZN9rocsparseL31bsrmm_large_blockdim_kernel_extILj4ELj16ELj2Ell21rocsparse_complex_numIfES2_S2_S2_EEvb20rocsparse_direction_T3_S4_llNS_24const_host_device_scalarIT7_EEPKT2_PKS4_PKT4_S4_PKT5_llS7_PT6_ll16rocsparse_order_21rocsparse_index_base_b.has_dyn_sized_stack, 0
	.set _ZN9rocsparseL31bsrmm_large_blockdim_kernel_extILj4ELj16ELj2Ell21rocsparse_complex_numIfES2_S2_S2_EEvb20rocsparse_direction_T3_S4_llNS_24const_host_device_scalarIT7_EEPKT2_PKS4_PKT4_S4_PKT5_llS7_PT6_ll16rocsparse_order_21rocsparse_index_base_b.has_recursion, 0
	.set _ZN9rocsparseL31bsrmm_large_blockdim_kernel_extILj4ELj16ELj2Ell21rocsparse_complex_numIfES2_S2_S2_EEvb20rocsparse_direction_T3_S4_llNS_24const_host_device_scalarIT7_EEPKT2_PKS4_PKT4_S4_PKT5_llS7_PT6_ll16rocsparse_order_21rocsparse_index_base_b.has_indirect_call, 0
	.section	.AMDGPU.csdata,"",@progbits
; Kernel info:
; codeLenInByte = 2124
; TotalNumSgprs: 55
; NumVgprs: 36
; NumAgprs: 0
; TotalNumVgprs: 36
; ScratchSize: 0
; MemoryBound: 0
; FloatMode: 240
; IeeeMode: 1
; LDSByteSize: 1152 bytes/workgroup (compile time only)
; SGPRBlocks: 6
; VGPRBlocks: 4
; NumSGPRsForWavesPerEU: 55
; NumVGPRsForWavesPerEU: 36
; AccumOffset: 36
; Occupancy: 8
; WaveLimiterHint : 1
; COMPUTE_PGM_RSRC2:SCRATCH_EN: 0
; COMPUTE_PGM_RSRC2:USER_SGPR: 2
; COMPUTE_PGM_RSRC2:TRAP_HANDLER: 0
; COMPUTE_PGM_RSRC2:TGID_X_EN: 1
; COMPUTE_PGM_RSRC2:TGID_Y_EN: 1
; COMPUTE_PGM_RSRC2:TGID_Z_EN: 0
; COMPUTE_PGM_RSRC2:TIDIG_COMP_CNT: 1
; COMPUTE_PGM_RSRC3_GFX90A:ACCUM_OFFSET: 8
; COMPUTE_PGM_RSRC3_GFX90A:TG_SPLIT: 0
	.section	.text._ZN9rocsparseL31bsrmm_large_blockdim_kernel_extILj16ELj16ELj2Ell21rocsparse_complex_numIfES2_S2_S2_EEvb20rocsparse_direction_T3_S4_llNS_24const_host_device_scalarIT7_EEPKT2_PKS4_PKT4_S4_PKT5_llS7_PT6_ll16rocsparse_order_21rocsparse_index_base_b,"axG",@progbits,_ZN9rocsparseL31bsrmm_large_blockdim_kernel_extILj16ELj16ELj2Ell21rocsparse_complex_numIfES2_S2_S2_EEvb20rocsparse_direction_T3_S4_llNS_24const_host_device_scalarIT7_EEPKT2_PKS4_PKT4_S4_PKT5_llS7_PT6_ll16rocsparse_order_21rocsparse_index_base_b,comdat
	.globl	_ZN9rocsparseL31bsrmm_large_blockdim_kernel_extILj16ELj16ELj2Ell21rocsparse_complex_numIfES2_S2_S2_EEvb20rocsparse_direction_T3_S4_llNS_24const_host_device_scalarIT7_EEPKT2_PKS4_PKT4_S4_PKT5_llS7_PT6_ll16rocsparse_order_21rocsparse_index_base_b ; -- Begin function _ZN9rocsparseL31bsrmm_large_blockdim_kernel_extILj16ELj16ELj2Ell21rocsparse_complex_numIfES2_S2_S2_EEvb20rocsparse_direction_T3_S4_llNS_24const_host_device_scalarIT7_EEPKT2_PKS4_PKT4_S4_PKT5_llS7_PT6_ll16rocsparse_order_21rocsparse_index_base_b
	.p2align	8
	.type	_ZN9rocsparseL31bsrmm_large_blockdim_kernel_extILj16ELj16ELj2Ell21rocsparse_complex_numIfES2_S2_S2_EEvb20rocsparse_direction_T3_S4_llNS_24const_host_device_scalarIT7_EEPKT2_PKS4_PKT4_S4_PKT5_llS7_PT6_ll16rocsparse_order_21rocsparse_index_base_b,@function
_ZN9rocsparseL31bsrmm_large_blockdim_kernel_extILj16ELj16ELj2Ell21rocsparse_complex_numIfES2_S2_S2_EEvb20rocsparse_direction_T3_S4_llNS_24const_host_device_scalarIT7_EEPKT2_PKS4_PKT4_S4_PKT5_llS7_PT6_ll16rocsparse_order_21rocsparse_index_base_b: ; @_ZN9rocsparseL31bsrmm_large_blockdim_kernel_extILj16ELj16ELj2Ell21rocsparse_complex_numIfES2_S2_S2_EEvb20rocsparse_direction_T3_S4_llNS_24const_host_device_scalarIT7_EEPKT2_PKS4_PKT4_S4_PKT5_llS7_PT6_ll16rocsparse_order_21rocsparse_index_base_b
; %bb.0:
	s_load_dwordx2 s[4:5], s[0:1], 0x28
	s_load_dwordx4 s[20:23], s[0:1], 0x88
	s_mov_b32 s8, s3
	s_add_u32 s3, s0, 40
	s_addc_u32 s9, s1, 0
	s_load_dwordx2 s[6:7], s[0:1], 0x68
	s_add_u32 s10, s0, 0x68
	s_addc_u32 s11, s1, 0
	s_waitcnt lgkmcnt(0)
	s_bitcmp1_b32 s22, 0
	s_cselect_b32 s3, s3, s4
	s_cselect_b32 s5, s9, s5
	v_mov_b32_e32 v2, s3
	s_cselect_b32 s3, s11, s7
	s_cselect_b32 s4, s10, s6
	v_mov_b32_e32 v3, s5
	v_mov_b32_e32 v4, s4
	;; [unrolled: 1-line block ×3, first 2 shown]
	flat_load_dwordx2 v[2:3], v[2:3]
	s_waitcnt vmcnt(0) lgkmcnt(0)
	v_cmp_eq_f32_e32 vcc, 0, v2
	flat_load_dwordx2 v[4:5], v[4:5]
	v_cmp_eq_f32_e64 s[6:7], 0, v3
	s_and_b64 s[6:7], vcc, s[6:7]
	s_waitcnt vmcnt(0) lgkmcnt(0)
	v_cmp_eq_f32_e64 s[10:11], 1.0, v4
	v_cmp_eq_f32_e64 s[4:5], 0, v5
	s_and_b64 s[10:11], s[10:11], s[4:5]
	s_and_b64 s[6:7], s[6:7], s[10:11]
	s_xor_b64 s[6:7], s[6:7], -1
	s_and_saveexec_b64 s[10:11], s[6:7]
	s_cbranch_execz .LBB34_47
; %bb.1:
	s_load_dwordx4 s[16:19], s[0:1], 0x8
	s_load_dwordx2 s[10:11], s[0:1], 0x30
	s_ashr_i32 s3, s2, 31
	v_mov_b64_e32 v[6:7], s[2:3]
	s_mov_b64 s[22:23], 0
	s_waitcnt lgkmcnt(0)
	v_cmp_le_i64_e32 vcc, s[16:17], v[6:7]
	v_cmp_gt_i64_e64 s[6:7], s[16:17], v[6:7]
	s_mov_b64 s[34:35], 0
	s_cbranch_vccnz .LBB34_3
; %bb.2:
	s_lshl_b64 s[12:13], s[2:3], 3
	s_add_u32 s12, s10, s12
	s_addc_u32 s13, s11, s13
	s_load_dwordx2 s[12:13], s[12:13], 0x0
	s_waitcnt lgkmcnt(0)
	s_sub_u32 s34, s12, s21
	s_subb_u32 s35, s13, 0
.LBB34_3:
	s_andn2_b64 vcc, exec, s[6:7]
	s_cbranch_vccnz .LBB34_5
; %bb.4:
	s_lshl_b64 s[12:13], s[2:3], 3
	s_add_u32 s10, s10, s12
	s_addc_u32 s11, s11, s13
	s_load_dwordx2 s[10:11], s[10:11], 0x8
	s_waitcnt lgkmcnt(0)
	s_sub_u32 s22, s10, s21
	s_subb_u32 s23, s11, 0
.LBB34_5:
	s_load_dwordx2 s[16:17], s[0:1], 0x70
	s_load_dwordx2 s[36:37], s[0:1], 0x48
	v_bfe_u32 v10, v0, 10, 10
	v_lshl_add_u32 v8, s8, 5, v10
	v_mov_b32_e32 v9, 0
	v_and_b32_e32 v12, 0x3ff, v0
	v_mov_b64_e32 v[0:1], s[22:23]
	v_add_u32_e32 v6, 16, v8
	v_mov_b32_e32 v7, v9
	v_mov_b32_e32 v13, v9
	v_cmp_ge_i64_e32 vcc, s[34:35], v[0:1]
	s_waitcnt lgkmcnt(0)
	v_cmp_gt_i64_e64 s[8:9], s[36:37], v[12:13]
	v_cmp_gt_i64_e64 s[10:11], s[18:19], v[8:9]
	;; [unrolled: 1-line block ×3, first 2 shown]
	s_cbranch_vccnz .LBB34_23
; %bb.6:
	s_load_dwordx4 s[28:31], s[0:1], 0x38
	s_load_dwordx2 s[40:41], s[0:1], 0x0
	s_mul_i32 s3, s36, s37
	s_mul_hi_u32 s14, s36, s36
	v_mov_b32_e32 v11, v9
	s_add_i32 s14, s14, s3
	v_cmp_gt_i64_e32 vcc, s[36:37], v[10:11]
	s_add_i32 s3, s14, s3
	s_and_b64 s[38:39], s[8:9], vcc
	s_waitcnt lgkmcnt(0)
	s_bitcmp1_b32 s40, 0
	s_cselect_b64 s[14:15], -1, 0
	s_cmp_eq_u32 s41, 0
	v_mad_u64_u32 v[16:17], s[40:41], s36, v10, 0
	v_mov_b32_e32 v18, v17
	v_lshlrev_b32_e32 v0, 3, v10
	v_lshlrev_b32_e32 v26, 7, v10
	v_mad_u64_u32 v[10:11], s[40:41], s37, v10, v[18:19]
	v_mov_b32_e32 v17, v10
	s_load_dwordx4 s[24:27], s[0:1], 0x50
	v_lshl_add_u64 v[10:11], v[16:17], 3, s[30:31]
	v_mad_u64_u32 v[16:17], s[40:41], s36, v12, 0
	v_mov_b32_e32 v18, v17
	v_mad_u64_u32 v[18:19], s[40:41], s37, v12, v[18:19]
	v_mov_b32_e32 v17, v18
	v_lshl_add_u64 v[16:17], v[16:17], 3, s[30:31]
	v_mov_b32_e32 v1, v9
	v_add_u32_e32 v24, 0x1000, v0
	v_lshl_add_u64 v[0:1], v[16:17], 0, v[0:1]
	s_waitcnt lgkmcnt(0)
	v_mad_u64_u32 v[16:17], s[30:31], s26, v8, 0
	v_mov_b32_e32 v18, v17
	v_mad_u64_u32 v[18:19], s[30:31], s27, v8, v[18:19]
	v_mov_b32_e32 v17, v18
	v_mad_u64_u32 v[18:19], s[30:31], s26, v6, 0
	v_lshlrev_b32_e32 v22, 3, v12
	v_mov_b32_e32 v23, v9
	v_mov_b32_e32 v20, v19
	v_lshl_add_u64 v[10:11], v[10:11], 0, v[22:23]
	s_cselect_b64 vcc, -1, 0
	v_mad_u64_u32 v[20:21], s[30:31], s27, v6, v[20:21]
	v_lshl_add_u64 v[14:15], s[24:25], 0, v[22:23]
	v_lshlrev_b32_e32 v23, 7, v12
	v_cmp_gt_i64_e64 s[40:41], s[36:37], 0
	v_mov_b32_e32 v19, v20
	v_cndmask_b32_e32 v21, v11, v1, vcc
	v_cndmask_b32_e32 v20, v10, v0, vcc
	v_mov_b32_e32 v0, v9
	v_mov_b32_e32 v1, v9
	s_mul_i32 s33, s36, s36
	s_and_b64 s[30:31], s[10:11], s[40:41]
	s_and_b64 s[40:41], s[12:13], s[40:41]
	v_add_u32_e32 v27, 0x1000, v23
	v_add_u32_e32 v28, 0x800, v26
	;; [unrolled: 1-line block ×4, first 2 shown]
	v_mov_b64_e32 v[10:11], v[0:1]
	s_branch .LBB34_9
.LBB34_7:                               ;   in Loop: Header=BB34_9 Depth=1
	s_or_b64 exec, exec, s[44:45]
.LBB34_8:                               ;   in Loop: Header=BB34_9 Depth=1
	s_or_b64 exec, exec, s[42:43]
	s_add_u32 s34, s34, 1
	s_addc_u32 s35, s35, 0
	v_mov_b64_e32 v[22:23], s[22:23]
	v_cmp_ge_i64_e32 vcc, s[34:35], v[22:23]
	s_barrier
	s_cbranch_vccnz .LBB34_24
.LBB34_9:                               ; =>This Loop Header: Depth=1
                                        ;     Child Loop BB34_19 Depth 2
                                        ;     Child Loop BB34_22 Depth 2
	s_and_saveexec_b64 s[42:43], s[8:9]
	s_cbranch_execz .LBB34_14
; %bb.10:                               ;   in Loop: Header=BB34_9 Depth=1
	s_lshl_b64 s[44:45], s[34:35], 3
	s_add_u32 s44, s28, s44
	s_addc_u32 s45, s29, s45
	s_load_dwordx2 s[44:45], s[44:45], 0x0
	v_mov_b32_e32 v22, s36
	s_waitcnt lgkmcnt(0)
	s_sub_u32 s46, s44, s21
	s_subb_u32 s45, s45, 0
	s_mul_i32 s48, s46, s37
	s_mul_i32 s45, s45, s36
	s_mul_hi_u32 s47, s46, s36
	s_add_i32 s48, s48, s45
	s_mul_i32 s44, s46, s36
	s_add_i32 s45, s48, s47
	v_mad_u64_u32 v[22:23], s[46:47], s46, v22, v[12:13]
	v_add_u32_e32 v23, s48, v23
	v_mul_lo_u32 v24, v23, s26
	v_mul_lo_u32 v25, v22, s27
	v_mad_u64_u32 v[22:23], s[46:47], v22, s26, 0
	v_add3_u32 v23, v23, v25, v24
	v_lshl_add_u64 v[22:23], v[22:23], 3, s[24:25]
	v_lshl_add_u64 v[24:25], s[44:45], 3, v[14:15]
	s_and_saveexec_b64 s[44:45], s[10:11]
	s_cbranch_execz .LBB34_12
; %bb.11:                               ;   in Loop: Header=BB34_9 Depth=1
	v_lshl_add_u64 v[32:33], v[8:9], 3, v[22:23]
	v_lshl_add_u64 v[34:35], v[16:17], 3, v[24:25]
	v_cndmask_b32_e64 v33, v33, v35, s[14:15]
	v_cndmask_b32_e64 v32, v32, v34, s[14:15]
	global_load_dwordx2 v[32:33], v[32:33], off
	s_waitcnt vmcnt(0)
	ds_write_b64 v29, v[32:33]
.LBB34_12:                              ;   in Loop: Header=BB34_9 Depth=1
	s_or_b64 exec, exec, s[44:45]
	s_and_b64 exec, exec, s[12:13]
	s_cbranch_execz .LBB34_14
; %bb.13:                               ;   in Loop: Header=BB34_9 Depth=1
	v_lshl_add_u64 v[24:25], v[18:19], 3, v[24:25]
	v_lshl_add_u64 v[22:23], v[6:7], 3, v[22:23]
	v_cndmask_b32_e64 v23, v23, v25, s[14:15]
	v_cndmask_b32_e64 v22, v22, v24, s[14:15]
	global_load_dwordx2 v[22:23], v[22:23], off
	s_waitcnt vmcnt(0)
	ds_write_b64 v29, v[22:23] offset:2048
.LBB34_14:                              ;   in Loop: Header=BB34_9 Depth=1
	s_or_b64 exec, exec, s[42:43]
	s_and_saveexec_b64 s[42:43], s[38:39]
	s_cbranch_execz .LBB34_16
; %bb.15:                               ;   in Loop: Header=BB34_9 Depth=1
	s_mul_i32 s44, s33, s35
	s_mul_hi_u32 s45, s33, s34
	s_add_i32 s44, s45, s44
	s_mul_i32 s45, s3, s34
	s_add_i32 s45, s44, s45
	s_mul_i32 s44, s33, s34
	v_lshl_add_u64 v[22:23], s[44:45], 3, v[20:21]
	global_load_dwordx2 v[22:23], v[22:23], off
	s_waitcnt vmcnt(0)
	ds_write_b64 v30, v[22:23]
.LBB34_16:                              ;   in Loop: Header=BB34_9 Depth=1
	s_or_b64 exec, exec, s[42:43]
	s_waitcnt lgkmcnt(0)
	s_barrier
	s_and_saveexec_b64 s[42:43], s[8:9]
	s_cbranch_execz .LBB34_8
; %bb.17:                               ;   in Loop: Header=BB34_9 Depth=1
	s_and_saveexec_b64 s[44:45], s[30:31]
	s_cbranch_execz .LBB34_20
; %bb.18:                               ;   in Loop: Header=BB34_9 Depth=1
	v_mov_b32_e32 v22, v27
	v_mov_b32_e32 v23, v26
	s_mov_b64 s[46:47], s[36:37]
.LBB34_19:                              ;   Parent Loop BB34_9 Depth=1
                                        ; =>  This Inner Loop Header: Depth=2
	ds_read_b64 v[24:25], v23
	ds_read_b64 v[32:33], v22
	s_add_u32 s46, s46, -1
	s_addc_u32 s47, s47, -1
	v_add_u32_e32 v23, 8, v23
	v_add_u32_e32 v22, 8, v22
	s_waitcnt lgkmcnt(0)
	v_xor_b32_e32 v34, 0x80000000, v33
	v_pk_fma_f32 v[10:11], v[32:33], v[24:25], v[10:11] op_sel_hi:[1,0,1]
	v_mov_b32_e32 v35, v32
	s_cmp_lg_u64 s[46:47], 0
	v_pk_fma_f32 v[10:11], v[34:35], v[24:25], v[10:11] op_sel:[0,1,0]
	s_cbranch_scc1 .LBB34_19
.LBB34_20:                              ;   in Loop: Header=BB34_9 Depth=1
	s_or_b64 exec, exec, s[44:45]
	s_and_saveexec_b64 s[44:45], s[40:41]
	s_cbranch_execz .LBB34_7
; %bb.21:                               ;   in Loop: Header=BB34_9 Depth=1
	v_mov_b32_e32 v22, v27
	v_mov_b32_e32 v23, v28
	s_mov_b64 s[46:47], s[36:37]
.LBB34_22:                              ;   Parent Loop BB34_9 Depth=1
                                        ; =>  This Inner Loop Header: Depth=2
	ds_read_b64 v[24:25], v23
	ds_read_b64 v[32:33], v22
	s_add_u32 s46, s46, -1
	s_addc_u32 s47, s47, -1
	v_add_u32_e32 v23, 8, v23
	v_add_u32_e32 v22, 8, v22
	s_waitcnt lgkmcnt(0)
	v_xor_b32_e32 v34, 0x80000000, v33
	v_pk_fma_f32 v[0:1], v[32:33], v[24:25], v[0:1] op_sel_hi:[1,0,1]
	v_mov_b32_e32 v35, v32
	s_cmp_lg_u64 s[46:47], 0
	v_pk_fma_f32 v[0:1], v[34:35], v[24:25], v[0:1] op_sel:[0,1,0]
	s_cbranch_scc1 .LBB34_22
	s_branch .LBB34_7
.LBB34_23:
	v_mov_b32_e32 v10, v9
	v_mov_b32_e32 v11, v9
	v_mov_b64_e32 v[0:1], v[10:11]
.LBB34_24:
	s_and_b64 s[6:7], s[6:7], s[8:9]
	s_and_b64 exec, exec, s[6:7]
	s_cbranch_execz .LBB34_47
; %bb.25:
	v_mov_b32_e32 v14, s2
	v_mad_u64_u32 v[12:13], s[6:7], s36, v14, v[12:13]
	s_mul_i32 s2, s37, s2
	v_add_u32_e32 v13, s2, v13
	s_load_dwordx2 s[2:3], s[0:1], 0x78
	v_cmp_neq_f32_e32 vcc, 0, v4
	s_xor_b64 s[0:1], s[4:5], -1
	s_or_b64 s[4:5], vcc, s[0:1]
	s_cmp_lg_u32 s20, 1
	s_waitcnt lgkmcnt(0)
	v_mul_lo_u32 v16, s3, v12
	v_mul_lo_u32 v17, s2, v13
	v_mad_u64_u32 v[14:15], s[6:7], s2, v12, 0
	v_add3_u32 v15, v15, v17, v16
	s_cselect_b64 s[0:1], -1, 0
	v_lshl_add_u64 v[14:15], v[14:15], 3, s[16:17]
	v_lshl_add_u64 v[12:13], v[12:13], 3, s[16:17]
	v_cmp_gt_i64_e32 vcc, s[18:19], v[8:9]
	s_and_saveexec_b64 s[6:7], vcc
	s_cbranch_execz .LBB34_36
; %bb.26:
	s_and_saveexec_b64 s[8:9], s[4:5]
	s_xor_b64 s[8:9], exec, s[8:9]
	s_cbranch_execz .LBB34_31
; %bb.27:
	s_mov_b64 s[10:11], -1
	s_and_b64 vcc, exec, s[0:1]
	s_cbranch_vccz .LBB34_29
; %bb.28:
	v_lshl_add_u64 v[16:17], v[8:9], 3, v[14:15]
	global_load_dwordx2 v[18:19], v[16:17], off
	v_xor_b32_e32 v20, 0x80000000, v3
	v_mov_b32_e32 v21, v2
	v_pk_mul_f32 v[20:21], v[10:11], v[20:21] op_sel:[1,0]
	v_xor_b32_e32 v22, 0x80000000, v5
	v_pk_fma_f32 v[20:21], v[2:3], v[10:11], v[20:21] op_sel_hi:[1,0,1]
	v_mov_b32_e32 v23, v4
	s_mov_b64 s[10:11], 0
	s_waitcnt vmcnt(0)
	v_pk_fma_f32 v[20:21], v[4:5], v[18:19], v[20:21] op_sel_hi:[1,0,1]
	s_nop 0
	v_pk_fma_f32 v[18:19], v[22:23], v[18:19], v[20:21] op_sel:[0,1,0]
	global_store_dwordx2 v[16:17], v[18:19], off
.LBB34_29:
	s_andn2_b64 vcc, exec, s[10:11]
	s_cbranch_vccnz .LBB34_31
; %bb.30:
	v_mad_u64_u32 v[16:17], s[10:11], s2, v8, 0
	v_mov_b32_e32 v18, v17
	v_mad_u64_u32 v[8:9], s[10:11], s3, v8, v[18:19]
	v_mov_b32_e32 v17, v8
	v_lshl_add_u64 v[8:9], v[16:17], 3, v[12:13]
	global_load_dwordx2 v[16:17], v[8:9], off
	v_xor_b32_e32 v18, 0x80000000, v3
	v_mov_b32_e32 v19, v2
	v_pk_mul_f32 v[18:19], v[10:11], v[18:19] op_sel:[1,0]
	v_xor_b32_e32 v20, 0x80000000, v5
	v_pk_fma_f32 v[10:11], v[2:3], v[10:11], v[18:19] op_sel_hi:[1,0,1]
	v_mov_b32_e32 v21, v4
	s_waitcnt vmcnt(0)
	v_pk_fma_f32 v[10:11], v[4:5], v[16:17], v[10:11] op_sel_hi:[1,0,1]
	s_nop 0
	v_pk_fma_f32 v[10:11], v[20:21], v[16:17], v[10:11] op_sel:[0,1,0]
	global_store_dwordx2 v[8:9], v[10:11], off
                                        ; implicit-def: $vgpr8_vgpr9
                                        ; implicit-def: $vgpr10_vgpr11
.LBB34_31:
	s_andn2_saveexec_b64 s[8:9], s[8:9]
	s_cbranch_execz .LBB34_36
; %bb.32:
	v_xor_b32_e32 v16, 0x80000000, v3
	v_mov_b32_e32 v17, v2
	v_pk_mul_f32 v[16:17], v[10:11], v[16:17] op_sel:[1,0]
	s_mov_b64 s[8:9], -1
	v_pk_fma_f32 v[10:11], v[2:3], v[10:11], v[16:17] op_sel_hi:[1,0,1]
	s_and_b64 vcc, exec, s[0:1]
	s_cbranch_vccz .LBB34_34
; %bb.33:
	v_lshl_add_u64 v[16:17], v[8:9], 3, v[14:15]
	global_store_dwordx2 v[16:17], v[10:11], off
	s_mov_b64 s[8:9], 0
.LBB34_34:
	s_andn2_b64 vcc, exec, s[8:9]
	s_cbranch_vccnz .LBB34_36
; %bb.35:
	v_mad_u64_u32 v[16:17], s[8:9], s2, v8, 0
	v_mov_b32_e32 v18, v17
	v_mad_u64_u32 v[8:9], s[8:9], s3, v8, v[18:19]
	v_mov_b32_e32 v17, v8
	v_lshl_add_u64 v[8:9], v[16:17], 3, v[12:13]
	global_store_dwordx2 v[8:9], v[10:11], off
.LBB34_36:
	s_or_b64 exec, exec, s[6:7]
	v_cmp_gt_i64_e32 vcc, s[18:19], v[6:7]
	s_and_b64 exec, exec, vcc
	s_cbranch_execz .LBB34_47
; %bb.37:
	v_cndmask_b32_e64 v8, 0, 1, s[0:1]
	v_cmp_ne_u32_e64 s[0:1], 1, v8
	s_and_saveexec_b64 s[6:7], s[4:5]
	s_xor_b64 s[4:5], exec, s[6:7]
	s_cbranch_execz .LBB34_42
; %bb.38:
	s_and_b64 vcc, exec, s[0:1]
	s_mov_b64 s[6:7], -1
	s_cbranch_vccnz .LBB34_40
; %bb.39:
	v_lshl_add_u64 v[8:9], v[6:7], 3, v[14:15]
	global_load_dwordx2 v[10:11], v[8:9], off
	v_xor_b32_e32 v14, 0x80000000, v3
	v_mov_b32_e32 v15, v2
	v_pk_mul_f32 v[14:15], v[0:1], v[14:15] op_sel:[1,0]
	v_xor_b32_e32 v16, 0x80000000, v5
	v_pk_fma_f32 v[14:15], v[2:3], v[0:1], v[14:15] op_sel_hi:[1,0,1]
	v_mov_b32_e32 v17, v4
	s_mov_b64 s[6:7], 0
	s_waitcnt vmcnt(0)
	v_pk_fma_f32 v[14:15], v[4:5], v[10:11], v[14:15] op_sel_hi:[1,0,1]
	s_nop 0
	v_pk_fma_f32 v[10:11], v[16:17], v[10:11], v[14:15] op_sel:[0,1,0]
	global_store_dwordx2 v[8:9], v[10:11], off
.LBB34_40:
	s_andn2_b64 vcc, exec, s[6:7]
                                        ; implicit-def: $vgpr14_vgpr15
	s_cbranch_vccnz .LBB34_42
; %bb.41:
	v_mad_u64_u32 v[8:9], s[6:7], s2, v6, 0
	v_mov_b32_e32 v10, v9
	v_mad_u64_u32 v[6:7], s[6:7], s3, v6, v[10:11]
	v_mov_b32_e32 v9, v6
	v_lshl_add_u64 v[6:7], v[8:9], 3, v[12:13]
	global_load_dwordx2 v[8:9], v[6:7], off
	v_xor_b32_e32 v10, 0x80000000, v3
	v_mov_b32_e32 v11, v2
	v_pk_mul_f32 v[10:11], v[0:1], v[10:11] op_sel:[1,0]
	v_xor_b32_e32 v12, 0x80000000, v5
	v_pk_fma_f32 v[0:1], v[2:3], v[0:1], v[10:11] op_sel_hi:[1,0,1]
	v_mov_b32_e32 v13, v4
                                        ; implicit-def: $vgpr2_vgpr3
                                        ; implicit-def: $vgpr14_vgpr15
	s_waitcnt vmcnt(0)
	v_pk_fma_f32 v[0:1], v[4:5], v[8:9], v[0:1] op_sel_hi:[1,0,1]
	s_nop 0
	v_pk_fma_f32 v[0:1], v[12:13], v[8:9], v[0:1] op_sel:[0,1,0]
	global_store_dwordx2 v[6:7], v[0:1], off
                                        ; implicit-def: $vgpr6_vgpr7
                                        ; implicit-def: $vgpr12_vgpr13
                                        ; implicit-def: $vgpr0_vgpr1
.LBB34_42:
	s_andn2_saveexec_b64 s[4:5], s[4:5]
	s_cbranch_execz .LBB34_47
; %bb.43:
	v_xor_b32_e32 v4, 0x80000000, v3
	v_mov_b32_e32 v5, v2
	v_pk_mul_f32 v[4:5], v[0:1], v[4:5] op_sel:[1,0]
	s_and_b64 vcc, exec, s[0:1]
	v_pk_fma_f32 v[0:1], v[2:3], v[0:1], v[4:5] op_sel_hi:[1,0,1]
	s_mov_b64 s[0:1], -1
	s_cbranch_vccnz .LBB34_45
; %bb.44:
	v_lshl_add_u64 v[2:3], v[6:7], 3, v[14:15]
	s_mov_b64 s[0:1], 0
	global_store_dwordx2 v[2:3], v[0:1], off
.LBB34_45:
	s_andn2_b64 vcc, exec, s[0:1]
	s_cbranch_vccnz .LBB34_47
; %bb.46:
	v_mad_u64_u32 v[2:3], s[0:1], s2, v6, 0
	v_mov_b32_e32 v4, v3
	v_mad_u64_u32 v[4:5], s[0:1], s3, v6, v[4:5]
	v_mov_b32_e32 v3, v4
	v_lshl_add_u64 v[2:3], v[2:3], 3, v[12:13]
	global_store_dwordx2 v[2:3], v[0:1], off
.LBB34_47:
	s_endpgm
	.section	.rodata,"a",@progbits
	.p2align	6, 0x0
	.amdhsa_kernel _ZN9rocsparseL31bsrmm_large_blockdim_kernel_extILj16ELj16ELj2Ell21rocsparse_complex_numIfES2_S2_S2_EEvb20rocsparse_direction_T3_S4_llNS_24const_host_device_scalarIT7_EEPKT2_PKS4_PKT4_S4_PKT5_llS7_PT6_ll16rocsparse_order_21rocsparse_index_base_b
		.amdhsa_group_segment_fixed_size 6144
		.amdhsa_private_segment_fixed_size 0
		.amdhsa_kernarg_size 148
		.amdhsa_user_sgpr_count 2
		.amdhsa_user_sgpr_dispatch_ptr 0
		.amdhsa_user_sgpr_queue_ptr 0
		.amdhsa_user_sgpr_kernarg_segment_ptr 1
		.amdhsa_user_sgpr_dispatch_id 0
		.amdhsa_user_sgpr_kernarg_preload_length 0
		.amdhsa_user_sgpr_kernarg_preload_offset 0
		.amdhsa_user_sgpr_private_segment_size 0
		.amdhsa_uses_dynamic_stack 0
		.amdhsa_enable_private_segment 0
		.amdhsa_system_sgpr_workgroup_id_x 1
		.amdhsa_system_sgpr_workgroup_id_y 1
		.amdhsa_system_sgpr_workgroup_id_z 0
		.amdhsa_system_sgpr_workgroup_info 0
		.amdhsa_system_vgpr_workitem_id 1
		.amdhsa_next_free_vgpr 36
		.amdhsa_next_free_sgpr 49
		.amdhsa_accum_offset 36
		.amdhsa_reserve_vcc 1
		.amdhsa_float_round_mode_32 0
		.amdhsa_float_round_mode_16_64 0
		.amdhsa_float_denorm_mode_32 3
		.amdhsa_float_denorm_mode_16_64 3
		.amdhsa_dx10_clamp 1
		.amdhsa_ieee_mode 1
		.amdhsa_fp16_overflow 0
		.amdhsa_tg_split 0
		.amdhsa_exception_fp_ieee_invalid_op 0
		.amdhsa_exception_fp_denorm_src 0
		.amdhsa_exception_fp_ieee_div_zero 0
		.amdhsa_exception_fp_ieee_overflow 0
		.amdhsa_exception_fp_ieee_underflow 0
		.amdhsa_exception_fp_ieee_inexact 0
		.amdhsa_exception_int_div_zero 0
	.end_amdhsa_kernel
	.section	.text._ZN9rocsparseL31bsrmm_large_blockdim_kernel_extILj16ELj16ELj2Ell21rocsparse_complex_numIfES2_S2_S2_EEvb20rocsparse_direction_T3_S4_llNS_24const_host_device_scalarIT7_EEPKT2_PKS4_PKT4_S4_PKT5_llS7_PT6_ll16rocsparse_order_21rocsparse_index_base_b,"axG",@progbits,_ZN9rocsparseL31bsrmm_large_blockdim_kernel_extILj16ELj16ELj2Ell21rocsparse_complex_numIfES2_S2_S2_EEvb20rocsparse_direction_T3_S4_llNS_24const_host_device_scalarIT7_EEPKT2_PKS4_PKT4_S4_PKT5_llS7_PT6_ll16rocsparse_order_21rocsparse_index_base_b,comdat
.Lfunc_end34:
	.size	_ZN9rocsparseL31bsrmm_large_blockdim_kernel_extILj16ELj16ELj2Ell21rocsparse_complex_numIfES2_S2_S2_EEvb20rocsparse_direction_T3_S4_llNS_24const_host_device_scalarIT7_EEPKT2_PKS4_PKT4_S4_PKT5_llS7_PT6_ll16rocsparse_order_21rocsparse_index_base_b, .Lfunc_end34-_ZN9rocsparseL31bsrmm_large_blockdim_kernel_extILj16ELj16ELj2Ell21rocsparse_complex_numIfES2_S2_S2_EEvb20rocsparse_direction_T3_S4_llNS_24const_host_device_scalarIT7_EEPKT2_PKS4_PKT4_S4_PKT5_llS7_PT6_ll16rocsparse_order_21rocsparse_index_base_b
                                        ; -- End function
	.set _ZN9rocsparseL31bsrmm_large_blockdim_kernel_extILj16ELj16ELj2Ell21rocsparse_complex_numIfES2_S2_S2_EEvb20rocsparse_direction_T3_S4_llNS_24const_host_device_scalarIT7_EEPKT2_PKS4_PKT4_S4_PKT5_llS7_PT6_ll16rocsparse_order_21rocsparse_index_base_b.num_vgpr, 36
	.set _ZN9rocsparseL31bsrmm_large_blockdim_kernel_extILj16ELj16ELj2Ell21rocsparse_complex_numIfES2_S2_S2_EEvb20rocsparse_direction_T3_S4_llNS_24const_host_device_scalarIT7_EEPKT2_PKS4_PKT4_S4_PKT5_llS7_PT6_ll16rocsparse_order_21rocsparse_index_base_b.num_agpr, 0
	.set _ZN9rocsparseL31bsrmm_large_blockdim_kernel_extILj16ELj16ELj2Ell21rocsparse_complex_numIfES2_S2_S2_EEvb20rocsparse_direction_T3_S4_llNS_24const_host_device_scalarIT7_EEPKT2_PKS4_PKT4_S4_PKT5_llS7_PT6_ll16rocsparse_order_21rocsparse_index_base_b.numbered_sgpr, 49
	.set _ZN9rocsparseL31bsrmm_large_blockdim_kernel_extILj16ELj16ELj2Ell21rocsparse_complex_numIfES2_S2_S2_EEvb20rocsparse_direction_T3_S4_llNS_24const_host_device_scalarIT7_EEPKT2_PKS4_PKT4_S4_PKT5_llS7_PT6_ll16rocsparse_order_21rocsparse_index_base_b.num_named_barrier, 0
	.set _ZN9rocsparseL31bsrmm_large_blockdim_kernel_extILj16ELj16ELj2Ell21rocsparse_complex_numIfES2_S2_S2_EEvb20rocsparse_direction_T3_S4_llNS_24const_host_device_scalarIT7_EEPKT2_PKS4_PKT4_S4_PKT5_llS7_PT6_ll16rocsparse_order_21rocsparse_index_base_b.private_seg_size, 0
	.set _ZN9rocsparseL31bsrmm_large_blockdim_kernel_extILj16ELj16ELj2Ell21rocsparse_complex_numIfES2_S2_S2_EEvb20rocsparse_direction_T3_S4_llNS_24const_host_device_scalarIT7_EEPKT2_PKS4_PKT4_S4_PKT5_llS7_PT6_ll16rocsparse_order_21rocsparse_index_base_b.uses_vcc, 1
	.set _ZN9rocsparseL31bsrmm_large_blockdim_kernel_extILj16ELj16ELj2Ell21rocsparse_complex_numIfES2_S2_S2_EEvb20rocsparse_direction_T3_S4_llNS_24const_host_device_scalarIT7_EEPKT2_PKS4_PKT4_S4_PKT5_llS7_PT6_ll16rocsparse_order_21rocsparse_index_base_b.uses_flat_scratch, 0
	.set _ZN9rocsparseL31bsrmm_large_blockdim_kernel_extILj16ELj16ELj2Ell21rocsparse_complex_numIfES2_S2_S2_EEvb20rocsparse_direction_T3_S4_llNS_24const_host_device_scalarIT7_EEPKT2_PKS4_PKT4_S4_PKT5_llS7_PT6_ll16rocsparse_order_21rocsparse_index_base_b.has_dyn_sized_stack, 0
	.set _ZN9rocsparseL31bsrmm_large_blockdim_kernel_extILj16ELj16ELj2Ell21rocsparse_complex_numIfES2_S2_S2_EEvb20rocsparse_direction_T3_S4_llNS_24const_host_device_scalarIT7_EEPKT2_PKS4_PKT4_S4_PKT5_llS7_PT6_ll16rocsparse_order_21rocsparse_index_base_b.has_recursion, 0
	.set _ZN9rocsparseL31bsrmm_large_blockdim_kernel_extILj16ELj16ELj2Ell21rocsparse_complex_numIfES2_S2_S2_EEvb20rocsparse_direction_T3_S4_llNS_24const_host_device_scalarIT7_EEPKT2_PKS4_PKT4_S4_PKT5_llS7_PT6_ll16rocsparse_order_21rocsparse_index_base_b.has_indirect_call, 0
	.section	.AMDGPU.csdata,"",@progbits
; Kernel info:
; codeLenInByte = 2132
; TotalNumSgprs: 55
; NumVgprs: 36
; NumAgprs: 0
; TotalNumVgprs: 36
; ScratchSize: 0
; MemoryBound: 0
; FloatMode: 240
; IeeeMode: 1
; LDSByteSize: 6144 bytes/workgroup (compile time only)
; SGPRBlocks: 6
; VGPRBlocks: 4
; NumSGPRsForWavesPerEU: 55
; NumVGPRsForWavesPerEU: 36
; AccumOffset: 36
; Occupancy: 8
; WaveLimiterHint : 1
; COMPUTE_PGM_RSRC2:SCRATCH_EN: 0
; COMPUTE_PGM_RSRC2:USER_SGPR: 2
; COMPUTE_PGM_RSRC2:TRAP_HANDLER: 0
; COMPUTE_PGM_RSRC2:TGID_X_EN: 1
; COMPUTE_PGM_RSRC2:TGID_Y_EN: 1
; COMPUTE_PGM_RSRC2:TGID_Z_EN: 0
; COMPUTE_PGM_RSRC2:TIDIG_COMP_CNT: 1
; COMPUTE_PGM_RSRC3_GFX90A:ACCUM_OFFSET: 8
; COMPUTE_PGM_RSRC3_GFX90A:TG_SPLIT: 0
	.section	.text._ZN9rocsparseL31bsrmm_large_blockdim_kernel_extILj32ELj32ELj2Ell21rocsparse_complex_numIfES2_S2_S2_EEvb20rocsparse_direction_T3_S4_llNS_24const_host_device_scalarIT7_EEPKT2_PKS4_PKT4_S4_PKT5_llS7_PT6_ll16rocsparse_order_21rocsparse_index_base_b,"axG",@progbits,_ZN9rocsparseL31bsrmm_large_blockdim_kernel_extILj32ELj32ELj2Ell21rocsparse_complex_numIfES2_S2_S2_EEvb20rocsparse_direction_T3_S4_llNS_24const_host_device_scalarIT7_EEPKT2_PKS4_PKT4_S4_PKT5_llS7_PT6_ll16rocsparse_order_21rocsparse_index_base_b,comdat
	.globl	_ZN9rocsparseL31bsrmm_large_blockdim_kernel_extILj32ELj32ELj2Ell21rocsparse_complex_numIfES2_S2_S2_EEvb20rocsparse_direction_T3_S4_llNS_24const_host_device_scalarIT7_EEPKT2_PKS4_PKT4_S4_PKT5_llS7_PT6_ll16rocsparse_order_21rocsparse_index_base_b ; -- Begin function _ZN9rocsparseL31bsrmm_large_blockdim_kernel_extILj32ELj32ELj2Ell21rocsparse_complex_numIfES2_S2_S2_EEvb20rocsparse_direction_T3_S4_llNS_24const_host_device_scalarIT7_EEPKT2_PKS4_PKT4_S4_PKT5_llS7_PT6_ll16rocsparse_order_21rocsparse_index_base_b
	.p2align	8
	.type	_ZN9rocsparseL31bsrmm_large_blockdim_kernel_extILj32ELj32ELj2Ell21rocsparse_complex_numIfES2_S2_S2_EEvb20rocsparse_direction_T3_S4_llNS_24const_host_device_scalarIT7_EEPKT2_PKS4_PKT4_S4_PKT5_llS7_PT6_ll16rocsparse_order_21rocsparse_index_base_b,@function
_ZN9rocsparseL31bsrmm_large_blockdim_kernel_extILj32ELj32ELj2Ell21rocsparse_complex_numIfES2_S2_S2_EEvb20rocsparse_direction_T3_S4_llNS_24const_host_device_scalarIT7_EEPKT2_PKS4_PKT4_S4_PKT5_llS7_PT6_ll16rocsparse_order_21rocsparse_index_base_b: ; @_ZN9rocsparseL31bsrmm_large_blockdim_kernel_extILj32ELj32ELj2Ell21rocsparse_complex_numIfES2_S2_S2_EEvb20rocsparse_direction_T3_S4_llNS_24const_host_device_scalarIT7_EEPKT2_PKS4_PKT4_S4_PKT5_llS7_PT6_ll16rocsparse_order_21rocsparse_index_base_b
; %bb.0:
	s_load_dwordx2 s[4:5], s[0:1], 0x28
	s_load_dwordx4 s[20:23], s[0:1], 0x88
	s_mov_b32 s8, s3
	s_add_u32 s3, s0, 40
	s_addc_u32 s9, s1, 0
	s_load_dwordx2 s[6:7], s[0:1], 0x68
	s_add_u32 s10, s0, 0x68
	s_addc_u32 s11, s1, 0
	s_waitcnt lgkmcnt(0)
	s_bitcmp1_b32 s22, 0
	s_cselect_b32 s3, s3, s4
	s_cselect_b32 s5, s9, s5
	v_mov_b32_e32 v2, s3
	s_cselect_b32 s3, s11, s7
	s_cselect_b32 s4, s10, s6
	v_mov_b32_e32 v3, s5
	v_mov_b32_e32 v4, s4
	;; [unrolled: 1-line block ×3, first 2 shown]
	flat_load_dwordx2 v[2:3], v[2:3]
	s_waitcnt vmcnt(0) lgkmcnt(0)
	v_cmp_eq_f32_e32 vcc, 0, v2
	flat_load_dwordx2 v[4:5], v[4:5]
	v_cmp_eq_f32_e64 s[6:7], 0, v3
	s_and_b64 s[6:7], vcc, s[6:7]
	s_waitcnt vmcnt(0) lgkmcnt(0)
	v_cmp_eq_f32_e64 s[10:11], 1.0, v4
	v_cmp_eq_f32_e64 s[4:5], 0, v5
	s_and_b64 s[10:11], s[10:11], s[4:5]
	s_and_b64 s[6:7], s[6:7], s[10:11]
	s_xor_b64 s[6:7], s[6:7], -1
	s_and_saveexec_b64 s[10:11], s[6:7]
	s_cbranch_execz .LBB35_47
; %bb.1:
	s_load_dwordx4 s[16:19], s[0:1], 0x8
	s_load_dwordx2 s[10:11], s[0:1], 0x30
	s_ashr_i32 s3, s2, 31
	v_mov_b64_e32 v[6:7], s[2:3]
	s_mov_b64 s[40:41], 0
	s_waitcnt lgkmcnt(0)
	v_cmp_le_i64_e32 vcc, s[16:17], v[6:7]
	v_cmp_gt_i64_e64 s[6:7], s[16:17], v[6:7]
	s_mov_b64 s[22:23], 0
	s_cbranch_vccnz .LBB35_3
; %bb.2:
	s_lshl_b64 s[12:13], s[2:3], 3
	s_add_u32 s12, s10, s12
	s_addc_u32 s13, s11, s13
	s_load_dwordx2 s[12:13], s[12:13], 0x0
	s_waitcnt lgkmcnt(0)
	s_sub_u32 s22, s12, s21
	s_subb_u32 s23, s13, 0
.LBB35_3:
	s_andn2_b64 vcc, exec, s[6:7]
	s_cbranch_vccnz .LBB35_5
; %bb.4:
	s_lshl_b64 s[12:13], s[2:3], 3
	s_add_u32 s10, s10, s12
	s_addc_u32 s11, s11, s13
	s_load_dwordx2 s[10:11], s[10:11], 0x8
	s_waitcnt lgkmcnt(0)
	s_sub_u32 s40, s10, s21
	s_subb_u32 s41, s11, 0
.LBB35_5:
	s_load_dwordx2 s[16:17], s[0:1], 0x70
	s_load_dwordx2 s[34:35], s[0:1], 0x48
	v_bfe_u32 v10, v0, 10, 10
	v_lshl_add_u32 v8, s8, 6, v10
	v_mov_b32_e32 v9, 0
	v_and_b32_e32 v12, 0x3ff, v0
	v_mov_b64_e32 v[0:1], s[40:41]
	v_add_u32_e32 v6, 32, v8
	v_mov_b32_e32 v7, v9
	v_mov_b32_e32 v13, v9
	v_cmp_ge_i64_e32 vcc, s[22:23], v[0:1]
	s_waitcnt lgkmcnt(0)
	v_cmp_gt_i64_e64 s[8:9], s[34:35], v[12:13]
	v_cmp_gt_i64_e64 s[10:11], s[18:19], v[8:9]
	;; [unrolled: 1-line block ×3, first 2 shown]
	s_cbranch_vccnz .LBB35_23
; %bb.6:
	s_load_dwordx4 s[28:31], s[0:1], 0x38
	s_load_dwordx2 s[38:39], s[0:1], 0x0
	s_mul_i32 s3, s34, s35
	s_mul_hi_u32 s14, s34, s34
	v_mov_b32_e32 v11, v9
	s_add_i32 s14, s14, s3
	v_cmp_gt_i64_e32 vcc, s[34:35], v[10:11]
	s_add_i32 s3, s14, s3
	s_and_b64 s[36:37], s[8:9], vcc
	s_waitcnt lgkmcnt(0)
	s_bitcmp1_b32 s38, 0
	s_cselect_b64 s[14:15], -1, 0
	s_cmp_eq_u32 s39, 0
	v_mad_u64_u32 v[16:17], s[38:39], s34, v10, 0
	v_mov_b32_e32 v18, v17
	v_lshlrev_b32_e32 v0, 3, v10
	v_lshlrev_b32_e32 v28, 8, v10
	v_mad_u64_u32 v[10:11], s[38:39], s35, v10, v[18:19]
	v_mov_b32_e32 v17, v10
	s_load_dwordx4 s[24:27], s[0:1], 0x50
	v_lshl_add_u64 v[10:11], v[16:17], 3, s[30:31]
	v_mad_u64_u32 v[16:17], s[38:39], s34, v12, 0
	v_mov_b32_e32 v18, v17
	v_mad_u64_u32 v[18:19], s[38:39], s35, v12, v[18:19]
	v_mov_b32_e32 v17, v18
	v_lshl_add_u64 v[16:17], v[16:17], 3, s[30:31]
	v_mov_b32_e32 v1, v9
	v_add_u32_e32 v24, 0x4000, v0
	v_lshl_add_u64 v[0:1], v[16:17], 0, v[0:1]
	s_waitcnt lgkmcnt(0)
	v_mad_u64_u32 v[16:17], s[30:31], s26, v8, 0
	v_mov_b32_e32 v18, v17
	v_mad_u64_u32 v[18:19], s[30:31], s27, v8, v[18:19]
	v_mov_b32_e32 v17, v18
	v_mad_u64_u32 v[18:19], s[30:31], s26, v6, 0
	v_lshlrev_b32_e32 v22, 3, v12
	v_mov_b32_e32 v23, v9
	v_mov_b32_e32 v20, v19
	v_lshl_add_u64 v[10:11], v[10:11], 0, v[22:23]
	s_cselect_b64 vcc, -1, 0
	v_mad_u64_u32 v[20:21], s[30:31], s27, v6, v[20:21]
	v_lshl_add_u64 v[14:15], s[24:25], 0, v[22:23]
	v_lshlrev_b32_e32 v23, 8, v12
	v_cmp_gt_i64_e64 s[38:39], s[34:35], 0
	v_mov_b32_e32 v19, v20
	v_cndmask_b32_e32 v21, v11, v1, vcc
	v_cndmask_b32_e32 v20, v10, v0, vcc
	v_mov_b32_e32 v0, v9
	v_mov_b32_e32 v1, v9
	s_mul_i32 s33, s34, s34
	s_and_b64 s[30:31], s[10:11], s[38:39]
	s_and_b64 s[38:39], s[12:13], s[38:39]
	v_add_u32_e32 v29, 0x4000, v23
	v_add_u32_e32 v30, 0x2000, v28
	v_add_u32_e32 v31, v22, v28
	v_add_u32_e32 v32, v24, v23
	v_mov_b64_e32 v[22:23], s[40:41]
	v_mov_b64_e32 v[10:11], v[0:1]
	s_branch .LBB35_9
.LBB35_7:                               ;   in Loop: Header=BB35_9 Depth=1
	s_or_b64 exec, exec, s[42:43]
.LBB35_8:                               ;   in Loop: Header=BB35_9 Depth=1
	s_or_b64 exec, exec, s[40:41]
	s_add_u32 s22, s22, 1
	s_addc_u32 s23, s23, 0
	v_cmp_ge_i64_e32 vcc, s[22:23], v[22:23]
	s_barrier
	s_cbranch_vccnz .LBB35_24
.LBB35_9:                               ; =>This Loop Header: Depth=1
                                        ;     Child Loop BB35_19 Depth 2
                                        ;     Child Loop BB35_22 Depth 2
	s_and_saveexec_b64 s[40:41], s[8:9]
	s_cbranch_execz .LBB35_14
; %bb.10:                               ;   in Loop: Header=BB35_9 Depth=1
	s_lshl_b64 s[42:43], s[22:23], 3
	s_add_u32 s42, s28, s42
	s_addc_u32 s43, s29, s43
	s_load_dwordx2 s[42:43], s[42:43], 0x0
	v_mov_b32_e32 v24, s34
	s_waitcnt lgkmcnt(0)
	s_sub_u32 s44, s42, s21
	s_subb_u32 s43, s43, 0
	s_mul_i32 s46, s44, s35
	s_mul_i32 s43, s43, s34
	s_mul_hi_u32 s45, s44, s34
	s_add_i32 s46, s46, s43
	s_mul_i32 s42, s44, s34
	s_add_i32 s43, s46, s45
	v_mad_u64_u32 v[24:25], s[44:45], s44, v24, v[12:13]
	v_add_u32_e32 v25, s46, v25
	v_mul_lo_u32 v26, v25, s26
	v_mul_lo_u32 v27, v24, s27
	v_mad_u64_u32 v[24:25], s[44:45], v24, s26, 0
	v_add3_u32 v25, v25, v27, v26
	v_lshl_add_u64 v[24:25], v[24:25], 3, s[24:25]
	v_lshl_add_u64 v[26:27], s[42:43], 3, v[14:15]
	s_and_saveexec_b64 s[42:43], s[10:11]
	s_cbranch_execz .LBB35_12
; %bb.11:                               ;   in Loop: Header=BB35_9 Depth=1
	v_lshl_add_u64 v[34:35], v[8:9], 3, v[24:25]
	v_lshl_add_u64 v[36:37], v[16:17], 3, v[26:27]
	v_cndmask_b32_e64 v35, v35, v37, s[14:15]
	v_cndmask_b32_e64 v34, v34, v36, s[14:15]
	global_load_dwordx2 v[34:35], v[34:35], off
	s_waitcnt vmcnt(0)
	ds_write_b64 v31, v[34:35]
.LBB35_12:                              ;   in Loop: Header=BB35_9 Depth=1
	s_or_b64 exec, exec, s[42:43]
	s_and_b64 exec, exec, s[12:13]
	s_cbranch_execz .LBB35_14
; %bb.13:                               ;   in Loop: Header=BB35_9 Depth=1
	v_lshl_add_u64 v[26:27], v[18:19], 3, v[26:27]
	v_lshl_add_u64 v[24:25], v[6:7], 3, v[24:25]
	v_cndmask_b32_e64 v25, v25, v27, s[14:15]
	v_cndmask_b32_e64 v24, v24, v26, s[14:15]
	global_load_dwordx2 v[24:25], v[24:25], off
	s_waitcnt vmcnt(0)
	ds_write_b64 v31, v[24:25] offset:8192
.LBB35_14:                              ;   in Loop: Header=BB35_9 Depth=1
	s_or_b64 exec, exec, s[40:41]
	s_and_saveexec_b64 s[40:41], s[36:37]
	s_cbranch_execz .LBB35_16
; %bb.15:                               ;   in Loop: Header=BB35_9 Depth=1
	s_mul_i32 s42, s33, s23
	s_mul_hi_u32 s43, s33, s22
	s_add_i32 s42, s43, s42
	s_mul_i32 s43, s3, s22
	s_add_i32 s43, s42, s43
	s_mul_i32 s42, s33, s22
	v_lshl_add_u64 v[24:25], s[42:43], 3, v[20:21]
	global_load_dwordx2 v[24:25], v[24:25], off
	s_waitcnt vmcnt(0)
	ds_write_b64 v32, v[24:25]
.LBB35_16:                              ;   in Loop: Header=BB35_9 Depth=1
	s_or_b64 exec, exec, s[40:41]
	s_waitcnt lgkmcnt(0)
	s_barrier
	s_and_saveexec_b64 s[40:41], s[8:9]
	s_cbranch_execz .LBB35_8
; %bb.17:                               ;   in Loop: Header=BB35_9 Depth=1
	s_and_saveexec_b64 s[42:43], s[30:31]
	s_cbranch_execz .LBB35_20
; %bb.18:                               ;   in Loop: Header=BB35_9 Depth=1
	v_mov_b32_e32 v24, v29
	v_mov_b32_e32 v25, v28
	s_mov_b64 s[44:45], s[34:35]
.LBB35_19:                              ;   Parent Loop BB35_9 Depth=1
                                        ; =>  This Inner Loop Header: Depth=2
	ds_read_b64 v[26:27], v25
	ds_read_b64 v[34:35], v24
	s_add_u32 s44, s44, -1
	s_addc_u32 s45, s45, -1
	v_add_u32_e32 v25, 8, v25
	v_add_u32_e32 v24, 8, v24
	s_waitcnt lgkmcnt(0)
	v_xor_b32_e32 v36, 0x80000000, v35
	v_pk_fma_f32 v[10:11], v[34:35], v[26:27], v[10:11] op_sel_hi:[1,0,1]
	v_mov_b32_e32 v37, v34
	s_cmp_lg_u64 s[44:45], 0
	v_pk_fma_f32 v[10:11], v[36:37], v[26:27], v[10:11] op_sel:[0,1,0]
	s_cbranch_scc1 .LBB35_19
.LBB35_20:                              ;   in Loop: Header=BB35_9 Depth=1
	s_or_b64 exec, exec, s[42:43]
	s_and_saveexec_b64 s[42:43], s[38:39]
	s_cbranch_execz .LBB35_7
; %bb.21:                               ;   in Loop: Header=BB35_9 Depth=1
	v_mov_b32_e32 v24, v29
	v_mov_b32_e32 v25, v30
	s_mov_b64 s[44:45], s[34:35]
.LBB35_22:                              ;   Parent Loop BB35_9 Depth=1
                                        ; =>  This Inner Loop Header: Depth=2
	ds_read_b64 v[26:27], v25
	ds_read_b64 v[34:35], v24
	s_add_u32 s44, s44, -1
	s_addc_u32 s45, s45, -1
	v_add_u32_e32 v25, 8, v25
	v_add_u32_e32 v24, 8, v24
	s_waitcnt lgkmcnt(0)
	v_xor_b32_e32 v36, 0x80000000, v35
	v_pk_fma_f32 v[0:1], v[34:35], v[26:27], v[0:1] op_sel_hi:[1,0,1]
	v_mov_b32_e32 v37, v34
	s_cmp_lg_u64 s[44:45], 0
	v_pk_fma_f32 v[0:1], v[36:37], v[26:27], v[0:1] op_sel:[0,1,0]
	s_cbranch_scc1 .LBB35_22
	s_branch .LBB35_7
.LBB35_23:
	v_mov_b32_e32 v10, v9
	v_mov_b32_e32 v11, v9
	v_mov_b64_e32 v[0:1], v[10:11]
.LBB35_24:
	s_and_b64 s[6:7], s[6:7], s[8:9]
	s_and_b64 exec, exec, s[6:7]
	s_cbranch_execz .LBB35_47
; %bb.25:
	v_mov_b32_e32 v14, s2
	v_mad_u64_u32 v[12:13], s[6:7], s34, v14, v[12:13]
	s_mul_i32 s2, s35, s2
	v_add_u32_e32 v13, s2, v13
	s_load_dwordx2 s[2:3], s[0:1], 0x78
	v_cmp_neq_f32_e32 vcc, 0, v4
	s_xor_b64 s[0:1], s[4:5], -1
	s_or_b64 s[4:5], vcc, s[0:1]
	s_cmp_lg_u32 s20, 1
	s_waitcnt lgkmcnt(0)
	v_mul_lo_u32 v16, s3, v12
	v_mul_lo_u32 v17, s2, v13
	v_mad_u64_u32 v[14:15], s[6:7], s2, v12, 0
	v_add3_u32 v15, v15, v17, v16
	s_cselect_b64 s[0:1], -1, 0
	v_lshl_add_u64 v[14:15], v[14:15], 3, s[16:17]
	v_lshl_add_u64 v[12:13], v[12:13], 3, s[16:17]
	v_cmp_gt_i64_e32 vcc, s[18:19], v[8:9]
	s_and_saveexec_b64 s[6:7], vcc
	s_cbranch_execz .LBB35_36
; %bb.26:
	s_and_saveexec_b64 s[8:9], s[4:5]
	s_xor_b64 s[8:9], exec, s[8:9]
	s_cbranch_execz .LBB35_31
; %bb.27:
	s_mov_b64 s[10:11], -1
	s_and_b64 vcc, exec, s[0:1]
	s_cbranch_vccz .LBB35_29
; %bb.28:
	v_lshl_add_u64 v[16:17], v[8:9], 3, v[14:15]
	global_load_dwordx2 v[18:19], v[16:17], off
	v_xor_b32_e32 v20, 0x80000000, v3
	v_mov_b32_e32 v21, v2
	v_pk_mul_f32 v[20:21], v[10:11], v[20:21] op_sel:[1,0]
	v_xor_b32_e32 v22, 0x80000000, v5
	v_pk_fma_f32 v[20:21], v[2:3], v[10:11], v[20:21] op_sel_hi:[1,0,1]
	v_mov_b32_e32 v23, v4
	s_mov_b64 s[10:11], 0
	s_waitcnt vmcnt(0)
	v_pk_fma_f32 v[20:21], v[4:5], v[18:19], v[20:21] op_sel_hi:[1,0,1]
	s_nop 0
	v_pk_fma_f32 v[18:19], v[22:23], v[18:19], v[20:21] op_sel:[0,1,0]
	global_store_dwordx2 v[16:17], v[18:19], off
.LBB35_29:
	s_andn2_b64 vcc, exec, s[10:11]
	s_cbranch_vccnz .LBB35_31
; %bb.30:
	v_mad_u64_u32 v[16:17], s[10:11], s2, v8, 0
	v_mov_b32_e32 v18, v17
	v_mad_u64_u32 v[8:9], s[10:11], s3, v8, v[18:19]
	v_mov_b32_e32 v17, v8
	v_lshl_add_u64 v[8:9], v[16:17], 3, v[12:13]
	global_load_dwordx2 v[16:17], v[8:9], off
	v_xor_b32_e32 v18, 0x80000000, v3
	v_mov_b32_e32 v19, v2
	v_pk_mul_f32 v[18:19], v[10:11], v[18:19] op_sel:[1,0]
	v_xor_b32_e32 v20, 0x80000000, v5
	v_pk_fma_f32 v[10:11], v[2:3], v[10:11], v[18:19] op_sel_hi:[1,0,1]
	v_mov_b32_e32 v21, v4
	s_waitcnt vmcnt(0)
	v_pk_fma_f32 v[10:11], v[4:5], v[16:17], v[10:11] op_sel_hi:[1,0,1]
	s_nop 0
	v_pk_fma_f32 v[10:11], v[20:21], v[16:17], v[10:11] op_sel:[0,1,0]
	global_store_dwordx2 v[8:9], v[10:11], off
                                        ; implicit-def: $vgpr8_vgpr9
                                        ; implicit-def: $vgpr10_vgpr11
.LBB35_31:
	s_andn2_saveexec_b64 s[8:9], s[8:9]
	s_cbranch_execz .LBB35_36
; %bb.32:
	v_xor_b32_e32 v16, 0x80000000, v3
	v_mov_b32_e32 v17, v2
	v_pk_mul_f32 v[16:17], v[10:11], v[16:17] op_sel:[1,0]
	s_mov_b64 s[8:9], -1
	v_pk_fma_f32 v[10:11], v[2:3], v[10:11], v[16:17] op_sel_hi:[1,0,1]
	s_and_b64 vcc, exec, s[0:1]
	s_cbranch_vccz .LBB35_34
; %bb.33:
	v_lshl_add_u64 v[16:17], v[8:9], 3, v[14:15]
	global_store_dwordx2 v[16:17], v[10:11], off
	s_mov_b64 s[8:9], 0
.LBB35_34:
	s_andn2_b64 vcc, exec, s[8:9]
	s_cbranch_vccnz .LBB35_36
; %bb.35:
	v_mad_u64_u32 v[16:17], s[8:9], s2, v8, 0
	v_mov_b32_e32 v18, v17
	v_mad_u64_u32 v[8:9], s[8:9], s3, v8, v[18:19]
	v_mov_b32_e32 v17, v8
	v_lshl_add_u64 v[8:9], v[16:17], 3, v[12:13]
	global_store_dwordx2 v[8:9], v[10:11], off
.LBB35_36:
	s_or_b64 exec, exec, s[6:7]
	v_cmp_gt_i64_e32 vcc, s[18:19], v[6:7]
	s_and_b64 exec, exec, vcc
	s_cbranch_execz .LBB35_47
; %bb.37:
	v_cndmask_b32_e64 v8, 0, 1, s[0:1]
	v_cmp_ne_u32_e64 s[0:1], 1, v8
	s_and_saveexec_b64 s[6:7], s[4:5]
	s_xor_b64 s[4:5], exec, s[6:7]
	s_cbranch_execz .LBB35_42
; %bb.38:
	s_and_b64 vcc, exec, s[0:1]
	s_mov_b64 s[6:7], -1
	s_cbranch_vccnz .LBB35_40
; %bb.39:
	v_lshl_add_u64 v[8:9], v[6:7], 3, v[14:15]
	global_load_dwordx2 v[10:11], v[8:9], off
	v_xor_b32_e32 v14, 0x80000000, v3
	v_mov_b32_e32 v15, v2
	v_pk_mul_f32 v[14:15], v[0:1], v[14:15] op_sel:[1,0]
	v_xor_b32_e32 v16, 0x80000000, v5
	v_pk_fma_f32 v[14:15], v[2:3], v[0:1], v[14:15] op_sel_hi:[1,0,1]
	v_mov_b32_e32 v17, v4
	s_mov_b64 s[6:7], 0
	s_waitcnt vmcnt(0)
	v_pk_fma_f32 v[14:15], v[4:5], v[10:11], v[14:15] op_sel_hi:[1,0,1]
	s_nop 0
	v_pk_fma_f32 v[10:11], v[16:17], v[10:11], v[14:15] op_sel:[0,1,0]
	global_store_dwordx2 v[8:9], v[10:11], off
.LBB35_40:
	s_andn2_b64 vcc, exec, s[6:7]
                                        ; implicit-def: $vgpr14_vgpr15
	s_cbranch_vccnz .LBB35_42
; %bb.41:
	v_mad_u64_u32 v[8:9], s[6:7], s2, v6, 0
	v_mov_b32_e32 v10, v9
	v_mad_u64_u32 v[6:7], s[6:7], s3, v6, v[10:11]
	v_mov_b32_e32 v9, v6
	v_lshl_add_u64 v[6:7], v[8:9], 3, v[12:13]
	global_load_dwordx2 v[8:9], v[6:7], off
	v_xor_b32_e32 v10, 0x80000000, v3
	v_mov_b32_e32 v11, v2
	v_pk_mul_f32 v[10:11], v[0:1], v[10:11] op_sel:[1,0]
	v_xor_b32_e32 v12, 0x80000000, v5
	v_pk_fma_f32 v[0:1], v[2:3], v[0:1], v[10:11] op_sel_hi:[1,0,1]
	v_mov_b32_e32 v13, v4
                                        ; implicit-def: $vgpr2_vgpr3
                                        ; implicit-def: $vgpr14_vgpr15
	s_waitcnt vmcnt(0)
	v_pk_fma_f32 v[0:1], v[4:5], v[8:9], v[0:1] op_sel_hi:[1,0,1]
	s_nop 0
	v_pk_fma_f32 v[0:1], v[12:13], v[8:9], v[0:1] op_sel:[0,1,0]
	global_store_dwordx2 v[6:7], v[0:1], off
                                        ; implicit-def: $vgpr6_vgpr7
                                        ; implicit-def: $vgpr12_vgpr13
                                        ; implicit-def: $vgpr0_vgpr1
.LBB35_42:
	s_andn2_saveexec_b64 s[4:5], s[4:5]
	s_cbranch_execz .LBB35_47
; %bb.43:
	v_xor_b32_e32 v4, 0x80000000, v3
	v_mov_b32_e32 v5, v2
	v_pk_mul_f32 v[4:5], v[0:1], v[4:5] op_sel:[1,0]
	s_and_b64 vcc, exec, s[0:1]
	v_pk_fma_f32 v[0:1], v[2:3], v[0:1], v[4:5] op_sel_hi:[1,0,1]
	s_mov_b64 s[0:1], -1
	s_cbranch_vccnz .LBB35_45
; %bb.44:
	v_lshl_add_u64 v[2:3], v[6:7], 3, v[14:15]
	s_mov_b64 s[0:1], 0
	global_store_dwordx2 v[2:3], v[0:1], off
.LBB35_45:
	s_andn2_b64 vcc, exec, s[0:1]
	s_cbranch_vccnz .LBB35_47
; %bb.46:
	v_mad_u64_u32 v[2:3], s[0:1], s2, v6, 0
	v_mov_b32_e32 v4, v3
	v_mad_u64_u32 v[4:5], s[0:1], s3, v6, v[4:5]
	v_mov_b32_e32 v3, v4
	v_lshl_add_u64 v[2:3], v[2:3], 3, v[12:13]
	global_store_dwordx2 v[2:3], v[0:1], off
.LBB35_47:
	s_endpgm
	.section	.rodata,"a",@progbits
	.p2align	6, 0x0
	.amdhsa_kernel _ZN9rocsparseL31bsrmm_large_blockdim_kernel_extILj32ELj32ELj2Ell21rocsparse_complex_numIfES2_S2_S2_EEvb20rocsparse_direction_T3_S4_llNS_24const_host_device_scalarIT7_EEPKT2_PKS4_PKT4_S4_PKT5_llS7_PT6_ll16rocsparse_order_21rocsparse_index_base_b
		.amdhsa_group_segment_fixed_size 24576
		.amdhsa_private_segment_fixed_size 0
		.amdhsa_kernarg_size 148
		.amdhsa_user_sgpr_count 2
		.amdhsa_user_sgpr_dispatch_ptr 0
		.amdhsa_user_sgpr_queue_ptr 0
		.amdhsa_user_sgpr_kernarg_segment_ptr 1
		.amdhsa_user_sgpr_dispatch_id 0
		.amdhsa_user_sgpr_kernarg_preload_length 0
		.amdhsa_user_sgpr_kernarg_preload_offset 0
		.amdhsa_user_sgpr_private_segment_size 0
		.amdhsa_uses_dynamic_stack 0
		.amdhsa_enable_private_segment 0
		.amdhsa_system_sgpr_workgroup_id_x 1
		.amdhsa_system_sgpr_workgroup_id_y 1
		.amdhsa_system_sgpr_workgroup_id_z 0
		.amdhsa_system_sgpr_workgroup_info 0
		.amdhsa_system_vgpr_workitem_id 1
		.amdhsa_next_free_vgpr 38
		.amdhsa_next_free_sgpr 47
		.amdhsa_accum_offset 40
		.amdhsa_reserve_vcc 1
		.amdhsa_float_round_mode_32 0
		.amdhsa_float_round_mode_16_64 0
		.amdhsa_float_denorm_mode_32 3
		.amdhsa_float_denorm_mode_16_64 3
		.amdhsa_dx10_clamp 1
		.amdhsa_ieee_mode 1
		.amdhsa_fp16_overflow 0
		.amdhsa_tg_split 0
		.amdhsa_exception_fp_ieee_invalid_op 0
		.amdhsa_exception_fp_denorm_src 0
		.amdhsa_exception_fp_ieee_div_zero 0
		.amdhsa_exception_fp_ieee_overflow 0
		.amdhsa_exception_fp_ieee_underflow 0
		.amdhsa_exception_fp_ieee_inexact 0
		.amdhsa_exception_int_div_zero 0
	.end_amdhsa_kernel
	.section	.text._ZN9rocsparseL31bsrmm_large_blockdim_kernel_extILj32ELj32ELj2Ell21rocsparse_complex_numIfES2_S2_S2_EEvb20rocsparse_direction_T3_S4_llNS_24const_host_device_scalarIT7_EEPKT2_PKS4_PKT4_S4_PKT5_llS7_PT6_ll16rocsparse_order_21rocsparse_index_base_b,"axG",@progbits,_ZN9rocsparseL31bsrmm_large_blockdim_kernel_extILj32ELj32ELj2Ell21rocsparse_complex_numIfES2_S2_S2_EEvb20rocsparse_direction_T3_S4_llNS_24const_host_device_scalarIT7_EEPKT2_PKS4_PKT4_S4_PKT5_llS7_PT6_ll16rocsparse_order_21rocsparse_index_base_b,comdat
.Lfunc_end35:
	.size	_ZN9rocsparseL31bsrmm_large_blockdim_kernel_extILj32ELj32ELj2Ell21rocsparse_complex_numIfES2_S2_S2_EEvb20rocsparse_direction_T3_S4_llNS_24const_host_device_scalarIT7_EEPKT2_PKS4_PKT4_S4_PKT5_llS7_PT6_ll16rocsparse_order_21rocsparse_index_base_b, .Lfunc_end35-_ZN9rocsparseL31bsrmm_large_blockdim_kernel_extILj32ELj32ELj2Ell21rocsparse_complex_numIfES2_S2_S2_EEvb20rocsparse_direction_T3_S4_llNS_24const_host_device_scalarIT7_EEPKT2_PKS4_PKT4_S4_PKT5_llS7_PT6_ll16rocsparse_order_21rocsparse_index_base_b
                                        ; -- End function
	.set _ZN9rocsparseL31bsrmm_large_blockdim_kernel_extILj32ELj32ELj2Ell21rocsparse_complex_numIfES2_S2_S2_EEvb20rocsparse_direction_T3_S4_llNS_24const_host_device_scalarIT7_EEPKT2_PKS4_PKT4_S4_PKT5_llS7_PT6_ll16rocsparse_order_21rocsparse_index_base_b.num_vgpr, 38
	.set _ZN9rocsparseL31bsrmm_large_blockdim_kernel_extILj32ELj32ELj2Ell21rocsparse_complex_numIfES2_S2_S2_EEvb20rocsparse_direction_T3_S4_llNS_24const_host_device_scalarIT7_EEPKT2_PKS4_PKT4_S4_PKT5_llS7_PT6_ll16rocsparse_order_21rocsparse_index_base_b.num_agpr, 0
	.set _ZN9rocsparseL31bsrmm_large_blockdim_kernel_extILj32ELj32ELj2Ell21rocsparse_complex_numIfES2_S2_S2_EEvb20rocsparse_direction_T3_S4_llNS_24const_host_device_scalarIT7_EEPKT2_PKS4_PKT4_S4_PKT5_llS7_PT6_ll16rocsparse_order_21rocsparse_index_base_b.numbered_sgpr, 47
	.set _ZN9rocsparseL31bsrmm_large_blockdim_kernel_extILj32ELj32ELj2Ell21rocsparse_complex_numIfES2_S2_S2_EEvb20rocsparse_direction_T3_S4_llNS_24const_host_device_scalarIT7_EEPKT2_PKS4_PKT4_S4_PKT5_llS7_PT6_ll16rocsparse_order_21rocsparse_index_base_b.num_named_barrier, 0
	.set _ZN9rocsparseL31bsrmm_large_blockdim_kernel_extILj32ELj32ELj2Ell21rocsparse_complex_numIfES2_S2_S2_EEvb20rocsparse_direction_T3_S4_llNS_24const_host_device_scalarIT7_EEPKT2_PKS4_PKT4_S4_PKT5_llS7_PT6_ll16rocsparse_order_21rocsparse_index_base_b.private_seg_size, 0
	.set _ZN9rocsparseL31bsrmm_large_blockdim_kernel_extILj32ELj32ELj2Ell21rocsparse_complex_numIfES2_S2_S2_EEvb20rocsparse_direction_T3_S4_llNS_24const_host_device_scalarIT7_EEPKT2_PKS4_PKT4_S4_PKT5_llS7_PT6_ll16rocsparse_order_21rocsparse_index_base_b.uses_vcc, 1
	.set _ZN9rocsparseL31bsrmm_large_blockdim_kernel_extILj32ELj32ELj2Ell21rocsparse_complex_numIfES2_S2_S2_EEvb20rocsparse_direction_T3_S4_llNS_24const_host_device_scalarIT7_EEPKT2_PKS4_PKT4_S4_PKT5_llS7_PT6_ll16rocsparse_order_21rocsparse_index_base_b.uses_flat_scratch, 0
	.set _ZN9rocsparseL31bsrmm_large_blockdim_kernel_extILj32ELj32ELj2Ell21rocsparse_complex_numIfES2_S2_S2_EEvb20rocsparse_direction_T3_S4_llNS_24const_host_device_scalarIT7_EEPKT2_PKS4_PKT4_S4_PKT5_llS7_PT6_ll16rocsparse_order_21rocsparse_index_base_b.has_dyn_sized_stack, 0
	.set _ZN9rocsparseL31bsrmm_large_blockdim_kernel_extILj32ELj32ELj2Ell21rocsparse_complex_numIfES2_S2_S2_EEvb20rocsparse_direction_T3_S4_llNS_24const_host_device_scalarIT7_EEPKT2_PKS4_PKT4_S4_PKT5_llS7_PT6_ll16rocsparse_order_21rocsparse_index_base_b.has_recursion, 0
	.set _ZN9rocsparseL31bsrmm_large_blockdim_kernel_extILj32ELj32ELj2Ell21rocsparse_complex_numIfES2_S2_S2_EEvb20rocsparse_direction_T3_S4_llNS_24const_host_device_scalarIT7_EEPKT2_PKS4_PKT4_S4_PKT5_llS7_PT6_ll16rocsparse_order_21rocsparse_index_base_b.has_indirect_call, 0
	.section	.AMDGPU.csdata,"",@progbits
; Kernel info:
; codeLenInByte = 2132
; TotalNumSgprs: 53
; NumVgprs: 38
; NumAgprs: 0
; TotalNumVgprs: 38
; ScratchSize: 0
; MemoryBound: 0
; FloatMode: 240
; IeeeMode: 1
; LDSByteSize: 24576 bytes/workgroup (compile time only)
; SGPRBlocks: 6
; VGPRBlocks: 4
; NumSGPRsForWavesPerEU: 53
; NumVGPRsForWavesPerEU: 38
; AccumOffset: 40
; Occupancy: 8
; WaveLimiterHint : 1
; COMPUTE_PGM_RSRC2:SCRATCH_EN: 0
; COMPUTE_PGM_RSRC2:USER_SGPR: 2
; COMPUTE_PGM_RSRC2:TRAP_HANDLER: 0
; COMPUTE_PGM_RSRC2:TGID_X_EN: 1
; COMPUTE_PGM_RSRC2:TGID_Y_EN: 1
; COMPUTE_PGM_RSRC2:TGID_Z_EN: 0
; COMPUTE_PGM_RSRC2:TIDIG_COMP_CNT: 1
; COMPUTE_PGM_RSRC3_GFX90A:ACCUM_OFFSET: 9
; COMPUTE_PGM_RSRC3_GFX90A:TG_SPLIT: 0
	.section	.text._ZN9rocsparseL31bsrmm_large_blockdim_kernel_extILj8ELj8ELj2Eii21rocsparse_complex_numIdES2_S2_S2_EEvb20rocsparse_direction_T3_S4_llNS_24const_host_device_scalarIT7_EEPKT2_PKS4_PKT4_S4_PKT5_llS7_PT6_ll16rocsparse_order_21rocsparse_index_base_b,"axG",@progbits,_ZN9rocsparseL31bsrmm_large_blockdim_kernel_extILj8ELj8ELj2Eii21rocsparse_complex_numIdES2_S2_S2_EEvb20rocsparse_direction_T3_S4_llNS_24const_host_device_scalarIT7_EEPKT2_PKS4_PKT4_S4_PKT5_llS7_PT6_ll16rocsparse_order_21rocsparse_index_base_b,comdat
	.globl	_ZN9rocsparseL31bsrmm_large_blockdim_kernel_extILj8ELj8ELj2Eii21rocsparse_complex_numIdES2_S2_S2_EEvb20rocsparse_direction_T3_S4_llNS_24const_host_device_scalarIT7_EEPKT2_PKS4_PKT4_S4_PKT5_llS7_PT6_ll16rocsparse_order_21rocsparse_index_base_b ; -- Begin function _ZN9rocsparseL31bsrmm_large_blockdim_kernel_extILj8ELj8ELj2Eii21rocsparse_complex_numIdES2_S2_S2_EEvb20rocsparse_direction_T3_S4_llNS_24const_host_device_scalarIT7_EEPKT2_PKS4_PKT4_S4_PKT5_llS7_PT6_ll16rocsparse_order_21rocsparse_index_base_b
	.p2align	8
	.type	_ZN9rocsparseL31bsrmm_large_blockdim_kernel_extILj8ELj8ELj2Eii21rocsparse_complex_numIdES2_S2_S2_EEvb20rocsparse_direction_T3_S4_llNS_24const_host_device_scalarIT7_EEPKT2_PKS4_PKT4_S4_PKT5_llS7_PT6_ll16rocsparse_order_21rocsparse_index_base_b,@function
_ZN9rocsparseL31bsrmm_large_blockdim_kernel_extILj8ELj8ELj2Eii21rocsparse_complex_numIdES2_S2_S2_EEvb20rocsparse_direction_T3_S4_llNS_24const_host_device_scalarIT7_EEPKT2_PKS4_PKT4_S4_PKT5_llS7_PT6_ll16rocsparse_order_21rocsparse_index_base_b: ; @_ZN9rocsparseL31bsrmm_large_blockdim_kernel_extILj8ELj8ELj2Eii21rocsparse_complex_numIdES2_S2_S2_EEvb20rocsparse_direction_T3_S4_llNS_24const_host_device_scalarIT7_EEPKT2_PKS4_PKT4_S4_PKT5_llS7_PT6_ll16rocsparse_order_21rocsparse_index_base_b
; %bb.0:
	s_load_dwordx2 s[6:7], s[0:1], 0x20
	s_load_dwordx4 s[16:19], s[0:1], 0x90
	s_mov_b32 s4, s3
	s_add_u32 s3, s0, 32
	s_addc_u32 s5, s1, 0
	s_add_u32 s10, s0, 0x68
	s_load_dwordx2 s[8:9], s[0:1], 0x68
	s_addc_u32 s11, s1, 0
	s_waitcnt lgkmcnt(0)
	s_bitcmp1_b32 s18, 0
	s_cselect_b32 s5, s5, s7
	s_cselect_b32 s3, s3, s6
	v_mov_b32_e32 v2, s3
	v_mov_b32_e32 v3, s5
	flat_load_dwordx4 v[2:5], v[2:3]
	s_cselect_b32 s3, s11, s9
	s_cselect_b32 s5, s10, s8
	v_mov_b32_e32 v6, s5
	v_mov_b32_e32 v7, s3
	flat_load_dwordx4 v[6:9], v[6:7]
	s_waitcnt vmcnt(0) lgkmcnt(0)
	v_cmp_eq_f64_e32 vcc, 0, v[2:3]
	v_cmp_eq_f64_e64 s[6:7], 0, v[4:5]
	s_and_b64 s[10:11], vcc, s[6:7]
	s_mov_b64 s[6:7], -1
	s_and_saveexec_b64 s[8:9], s[10:11]
; %bb.1:
	v_cmp_neq_f64_e32 vcc, 1.0, v[6:7]
	v_cmp_neq_f64_e64 s[6:7], 0, v[8:9]
	s_or_b64 s[6:7], vcc, s[6:7]
	s_orn2_b64 s[6:7], s[6:7], exec
; %bb.2:
	s_or_b64 exec, exec, s[8:9]
	s_and_saveexec_b64 s[8:9], s[6:7]
	s_cbranch_execz .LBB36_48
; %bb.3:
	s_load_dwordx4 s[12:15], s[0:1], 0x0
	s_load_dwordx2 s[6:7], s[0:1], 0x30
	s_mov_b32 s33, 0
	s_mov_b32 s30, 0
	s_waitcnt lgkmcnt(0)
	s_cmp_lt_i32 s2, s14
	s_cselect_b64 s[18:19], -1, 0
	s_cmp_ge_i32 s2, s14
	s_cbranch_scc1 .LBB36_5
; %bb.4:
	s_ashr_i32 s3, s2, 31
	s_lshl_b64 s[8:9], s[2:3], 2
	s_add_u32 s8, s6, s8
	s_addc_u32 s9, s7, s9
	s_load_dword s3, s[8:9], 0x0
	s_waitcnt lgkmcnt(0)
	s_sub_i32 s30, s3, s17
.LBB36_5:
	s_andn2_b64 vcc, exec, s[18:19]
	s_cbranch_vccnz .LBB36_7
; %bb.6:
	s_ashr_i32 s3, s2, 31
	s_lshl_b64 s[8:9], s[2:3], 2
	s_add_u32 s6, s6, s8
	s_addc_u32 s7, s7, s9
	s_load_dword s3, s[6:7], 0x4
	s_waitcnt lgkmcnt(0)
	s_sub_i32 s33, s3, s17
.LBB36_7:
	s_load_dwordx2 s[28:29], s[0:1], 0x78
	s_load_dword s3, s[0:1], 0x48
	v_bfe_u32 v22, v0, 10, 10
	v_lshl_add_u32 v20, s4, 4, v22
	v_add_u32_e32 v14, 8, v20
	v_and_b32_e32 v10, 0x3ff, v0
	s_waitcnt lgkmcnt(0)
	v_cmp_gt_i32_e32 vcc, s3, v10
	v_mov_b64_e32 v[0:1], 0
	s_cmp_ge_i32 s30, s33
	v_cmp_gt_i32_e64 s[4:5], s15, v20
	v_cmp_gt_i32_e64 s[6:7], s15, v14
	v_mov_b64_e32 v[12:13], 0
	v_mov_b64_e32 v[16:17], 0
	;; [unrolled: 1-line block ×3, first 2 shown]
	s_cbranch_scc1 .LBB36_25
; %bb.8:
	s_load_dwordx4 s[20:23], s[0:1], 0x38
	s_load_dwordx4 s[24:27], s[0:1], 0x50
	v_lshlrev_b32_e32 v11, 7, v22
	v_cmp_gt_i32_e64 s[8:9], s3, v22
	v_mad_u64_u32 v[0:1], s[10:11], s3, v22, v[10:11]
	s_and_b64 s[34:35], vcc, s[8:9]
	v_mov_b32_e32 v1, 0x800
	s_bitcmp1_b32 s12, 0
	v_lshl_add_u32 v31, v10, 7, v1
	v_mad_u64_u32 v[12:13], s[10:11], s3, v10, v[22:23]
	v_ashrrev_i32_e32 v21, 31, v20
	s_cselect_b64 s[8:9], -1, 0
	s_cmp_eq_u32 s13, 0
	v_lshl_add_u32 v32, v22, 4, v31
	s_waitcnt lgkmcnt(0)
	v_mul_lo_u32 v1, s27, v20
	v_mul_lo_u32 v13, s26, v21
	v_mad_u64_u32 v[22:23], s[10:11], s26, v20, 0
	v_ashrrev_i32_e32 v15, 31, v14
	v_mad_u64_u32 v[24:25], s[10:11], s26, v14, 0
	v_lshl_add_u32 v30, v10, 4, v11
	v_add3_u32 v23, v23, v13, v1
	v_mul_lo_u32 v1, s27, v14
	v_mul_lo_u32 v13, s26, v15
	s_cselect_b64 s[10:11], -1, 0
	s_mul_i32 s14, s3, s3
	v_add_u32_e32 v33, 0x400, v30
	v_add3_u32 v25, v25, v13, v1
	v_cndmask_b32_e64 v34, v0, v12, s[10:11]
	v_add_u32_e32 v35, 0x400, v11
	v_mov_b64_e32 v[18:19], 0
	v_mov_b64_e32 v[16:17], 0
	;; [unrolled: 1-line block ×4, first 2 shown]
	s_branch .LBB36_11
.LBB36_9:                               ;   in Loop: Header=BB36_11 Depth=1
	s_or_b64 exec, exec, s[12:13]
.LBB36_10:                              ;   in Loop: Header=BB36_11 Depth=1
	s_or_b64 exec, exec, s[10:11]
	s_add_i32 s30, s30, 1
	s_cmp_ge_i32 s30, s33
	; wave barrier
	s_cbranch_scc1 .LBB36_25
.LBB36_11:                              ; =>This Loop Header: Depth=1
                                        ;     Child Loop BB36_21 Depth 2
                                        ;     Child Loop BB36_24 Depth 2
	s_and_saveexec_b64 s[10:11], vcc
	s_cbranch_execz .LBB36_16
; %bb.12:                               ;   in Loop: Header=BB36_11 Depth=1
	s_ashr_i32 s31, s30, 31
	s_lshl_b64 s[12:13], s[30:31], 2
	s_add_u32 s12, s20, s12
	s_addc_u32 s13, s21, s13
	s_load_dword s12, s[12:13], 0x0
	s_waitcnt lgkmcnt(0)
	s_sub_i32 s12, s12, s17
	s_mul_i32 s12, s12, s3
	v_add_u32_e32 v28, s12, v10
	v_ashrrev_i32_e32 v29, 31, v28
	v_mul_lo_u32 v36, s27, v28
	v_mad_u64_u32 v[26:27], s[12:13], s26, v28, 0
	v_mul_lo_u32 v37, s26, v29
	v_add3_u32 v27, v27, v37, v36
	v_lshl_add_u64 v[26:27], v[26:27], 4, s[24:25]
	v_lshl_add_u64 v[28:29], v[28:29], 4, s[24:25]
	s_and_saveexec_b64 s[12:13], s[4:5]
	s_cbranch_execz .LBB36_14
; %bb.13:                               ;   in Loop: Header=BB36_11 Depth=1
	v_lshl_add_u64 v[36:37], v[22:23], 4, v[28:29]
	v_lshl_add_u64 v[38:39], v[20:21], 4, v[26:27]
	v_cndmask_b32_e64 v37, v39, v37, s[8:9]
	v_cndmask_b32_e64 v36, v38, v36, s[8:9]
	global_load_dwordx4 v[36:39], v[36:37], off
	s_waitcnt vmcnt(0)
	ds_write2_b64 v30, v[36:37], v[38:39] offset1:1
.LBB36_14:                              ;   in Loop: Header=BB36_11 Depth=1
	s_or_b64 exec, exec, s[12:13]
	s_and_b64 exec, exec, s[6:7]
	s_cbranch_execz .LBB36_16
; %bb.15:                               ;   in Loop: Header=BB36_11 Depth=1
	v_lshl_add_u64 v[28:29], v[24:25], 4, v[28:29]
	v_lshl_add_u64 v[26:27], v[14:15], 4, v[26:27]
	v_cndmask_b32_e64 v27, v27, v29, s[8:9]
	v_cndmask_b32_e64 v26, v26, v28, s[8:9]
	global_load_dwordx4 v[26:29], v[26:27], off
	s_waitcnt vmcnt(0)
	ds_write2_b64 v33, v[26:27], v[28:29] offset1:1
.LBB36_16:                              ;   in Loop: Header=BB36_11 Depth=1
	s_or_b64 exec, exec, s[10:11]
	s_and_saveexec_b64 s[10:11], s[34:35]
	s_cbranch_execz .LBB36_18
; %bb.17:                               ;   in Loop: Header=BB36_11 Depth=1
	s_mul_i32 s12, s14, s30
	v_add_u32_e32 v26, s12, v34
	v_ashrrev_i32_e32 v27, 31, v26
	v_lshl_add_u64 v[26:27], v[26:27], 4, s[22:23]
	global_load_dwordx4 v[26:29], v[26:27], off
	s_waitcnt vmcnt(0)
	ds_write2_b64 v32, v[26:27], v[28:29] offset1:1
.LBB36_18:                              ;   in Loop: Header=BB36_11 Depth=1
	s_or_b64 exec, exec, s[10:11]
	s_waitcnt lgkmcnt(0)
	; wave barrier
	s_and_saveexec_b64 s[10:11], vcc
	s_cbranch_execz .LBB36_10
; %bb.19:                               ;   in Loop: Header=BB36_11 Depth=1
	s_and_saveexec_b64 s[12:13], s[4:5]
	s_cbranch_execz .LBB36_22
; %bb.20:                               ;   in Loop: Header=BB36_11 Depth=1
	v_mov_b32_e32 v26, v31
	v_mov_b32_e32 v27, v11
	s_mov_b32 s31, s3
.LBB36_21:                              ;   Parent Loop BB36_11 Depth=1
                                        ; =>  This Inner Loop Header: Depth=2
	ds_read_b128 v[36:39], v26
	ds_read_b128 v[40:43], v27
	s_add_i32 s31, s31, -1
	v_add_u32_e32 v27, 16, v27
	v_add_u32_e32 v26, 16, v26
	s_cmp_lg_u32 s31, 0
	s_waitcnt lgkmcnt(0)
	v_fmac_f64_e32 v[0:1], v[36:37], v[40:41]
	v_fmac_f64_e32 v[12:13], v[38:39], v[40:41]
	v_fma_f64 v[0:1], -v[38:39], v[42:43], v[0:1]
	v_fmac_f64_e32 v[12:13], v[36:37], v[42:43]
	s_cbranch_scc1 .LBB36_21
.LBB36_22:                              ;   in Loop: Header=BB36_11 Depth=1
	s_or_b64 exec, exec, s[12:13]
	s_and_saveexec_b64 s[12:13], s[6:7]
	s_cbranch_execz .LBB36_9
; %bb.23:                               ;   in Loop: Header=BB36_11 Depth=1
	v_mov_b32_e32 v26, v31
	s_mov_b32 s31, s3
	v_mov_b32_e32 v27, v35
.LBB36_24:                              ;   Parent Loop BB36_11 Depth=1
                                        ; =>  This Inner Loop Header: Depth=2
	ds_read_b128 v[36:39], v26
	ds_read_b128 v[40:43], v27
	s_add_i32 s31, s31, -1
	v_add_u32_e32 v27, 16, v27
	v_add_u32_e32 v26, 16, v26
	s_cmp_lg_u32 s31, 0
	s_waitcnt lgkmcnt(0)
	v_fmac_f64_e32 v[16:17], v[36:37], v[40:41]
	v_fmac_f64_e32 v[18:19], v[38:39], v[40:41]
	v_fma_f64 v[16:17], -v[38:39], v[42:43], v[16:17]
	v_fmac_f64_e32 v[18:19], v[36:37], v[42:43]
	s_cbranch_scc1 .LBB36_24
	s_branch .LBB36_9
.LBB36_25:
	s_and_b64 s[4:5], s[18:19], vcc
	s_and_b64 exec, exec, s[4:5]
	s_cbranch_execz .LBB36_48
; %bb.26:
	s_mul_i32 s2, s3, s2
	v_add_u32_e32 v10, s2, v10
	s_load_dwordx2 s[2:3], s[0:1], 0x80
	v_cmp_neq_f64_e32 vcc, 0, v[6:7]
	v_cmp_neq_f64_e64 s[0:1], 0, v[8:9]
	v_ashrrev_i32_e32 v11, 31, v10
	s_or_b64 s[4:5], vcc, s[0:1]
	s_waitcnt lgkmcnt(0)
	v_mul_lo_u32 v15, s2, v11
	v_mul_lo_u32 v21, s3, v10
	v_mad_u64_u32 v[22:23], s[6:7], s2, v10, 0
	s_cmp_lg_u32 s16, 1
	v_add3_u32 v23, v23, v15, v21
	s_cselect_b64 s[0:1], -1, 0
	v_lshl_add_u64 v[24:25], v[22:23], 4, s[28:29]
	v_lshl_add_u64 v[22:23], v[10:11], 4, s[28:29]
	v_cmp_gt_i32_e32 vcc, s15, v20
	s_and_saveexec_b64 s[6:7], vcc
	s_cbranch_execz .LBB36_37
; %bb.27:
	v_ashrrev_i32_e32 v21, 31, v20
	s_and_saveexec_b64 s[8:9], s[4:5]
	s_xor_b64 s[8:9], exec, s[8:9]
	s_cbranch_execz .LBB36_32
; %bb.28:
	s_mov_b64 s[10:11], -1
	s_and_b64 vcc, exec, s[0:1]
	s_cbranch_vccz .LBB36_30
; %bb.29:
	v_lshl_add_u64 v[10:11], v[20:21], 4, v[24:25]
	global_load_dwordx4 v[26:29], v[10:11], off
	v_mul_f64 v[30:31], v[12:13], -v[4:5]
	v_mul_f64 v[32:33], v[2:3], v[12:13]
	v_fmac_f64_e32 v[30:31], v[2:3], v[0:1]
	v_fmac_f64_e32 v[32:33], v[4:5], v[0:1]
	s_mov_b64 s[10:11], 0
	s_waitcnt vmcnt(0)
	v_fmac_f64_e32 v[30:31], v[6:7], v[26:27]
	v_fmac_f64_e32 v[32:33], v[8:9], v[26:27]
	v_fma_f64 v[30:31], -v[8:9], v[28:29], v[30:31]
	v_fmac_f64_e32 v[32:33], v[6:7], v[28:29]
	global_store_dwordx4 v[10:11], v[30:33], off
.LBB36_30:
	s_andn2_b64 vcc, exec, s[10:11]
	s_cbranch_vccnz .LBB36_32
; %bb.31:
	v_mul_lo_u32 v15, s3, v20
	v_mul_lo_u32 v21, s2, v21
	v_mad_u64_u32 v[10:11], s[10:11], s2, v20, 0
	v_add3_u32 v11, v11, v21, v15
	v_lshl_add_u64 v[20:21], v[10:11], 4, v[22:23]
	global_load_dwordx4 v[26:29], v[20:21], off
	v_mul_f64 v[10:11], v[12:13], -v[4:5]
	v_mul_f64 v[12:13], v[2:3], v[12:13]
	v_fmac_f64_e32 v[10:11], v[2:3], v[0:1]
	v_fmac_f64_e32 v[12:13], v[4:5], v[0:1]
                                        ; implicit-def: $vgpr0_vgpr1
	s_waitcnt vmcnt(0)
	v_fmac_f64_e32 v[10:11], v[6:7], v[26:27]
	v_fmac_f64_e32 v[12:13], v[8:9], v[26:27]
	v_fma_f64 v[10:11], -v[8:9], v[28:29], v[10:11]
	v_fmac_f64_e32 v[12:13], v[6:7], v[28:29]
	global_store_dwordx4 v[20:21], v[10:13], off
                                        ; implicit-def: $vgpr12_vgpr13
                                        ; implicit-def: $vgpr20
.LBB36_32:
	s_andn2_saveexec_b64 s[8:9], s[8:9]
	s_cbranch_execz .LBB36_37
; %bb.33:
	v_mul_f64 v[10:11], v[12:13], -v[4:5]
	v_mul_f64 v[12:13], v[2:3], v[12:13]
	v_fmac_f64_e32 v[10:11], v[2:3], v[0:1]
	v_fmac_f64_e32 v[12:13], v[4:5], v[0:1]
	s_mov_b64 s[8:9], -1
	s_and_b64 vcc, exec, s[0:1]
	s_cbranch_vccz .LBB36_35
; %bb.34:
	v_lshl_add_u64 v[0:1], v[20:21], 4, v[24:25]
	global_store_dwordx4 v[0:1], v[10:13], off
	s_mov_b64 s[8:9], 0
.LBB36_35:
	s_andn2_b64 vcc, exec, s[8:9]
	s_cbranch_vccnz .LBB36_37
; %bb.36:
	v_mul_lo_u32 v15, s3, v20
	v_mul_lo_u32 v21, s2, v21
	v_mad_u64_u32 v[0:1], s[8:9], s2, v20, 0
	v_add3_u32 v1, v1, v21, v15
	v_lshl_add_u64 v[0:1], v[0:1], 4, v[22:23]
	global_store_dwordx4 v[0:1], v[10:13], off
.LBB36_37:
	s_or_b64 exec, exec, s[6:7]
	v_cmp_gt_i32_e32 vcc, s15, v14
	s_and_b64 exec, exec, vcc
	s_cbranch_execz .LBB36_48
; %bb.38:
	v_cndmask_b32_e64 v0, 0, 1, s[0:1]
	v_ashrrev_i32_e32 v15, 31, v14
	v_cmp_ne_u32_e64 s[0:1], 1, v0
	s_and_saveexec_b64 s[6:7], s[4:5]
	s_xor_b64 s[4:5], exec, s[6:7]
	s_cbranch_execz .LBB36_43
; %bb.39:
	s_and_b64 vcc, exec, s[0:1]
	s_mov_b64 s[6:7], -1
	s_cbranch_vccnz .LBB36_41
; %bb.40:
	v_lshl_add_u64 v[0:1], v[14:15], 4, v[24:25]
	global_load_dwordx4 v[10:13], v[0:1], off
	v_mul_f64 v[20:21], v[18:19], -v[4:5]
	v_mul_f64 v[26:27], v[2:3], v[18:19]
	v_fmac_f64_e32 v[20:21], v[2:3], v[16:17]
	v_fmac_f64_e32 v[26:27], v[4:5], v[16:17]
	s_mov_b64 s[6:7], 0
	s_waitcnt vmcnt(0)
	v_fmac_f64_e32 v[20:21], v[6:7], v[10:11]
	v_fmac_f64_e32 v[26:27], v[8:9], v[10:11]
	v_fma_f64 v[24:25], -v[8:9], v[12:13], v[20:21]
	v_fmac_f64_e32 v[26:27], v[6:7], v[12:13]
	global_store_dwordx4 v[0:1], v[24:27], off
.LBB36_41:
	s_andn2_b64 vcc, exec, s[6:7]
                                        ; implicit-def: $vgpr24_vgpr25
	s_cbranch_vccnz .LBB36_43
; %bb.42:
	v_mul_lo_u32 v10, s3, v14
	v_mul_lo_u32 v11, s2, v15
	v_mad_u64_u32 v[0:1], s[6:7], s2, v14, 0
	v_add3_u32 v1, v1, v11, v10
	v_lshl_add_u64 v[0:1], v[0:1], 4, v[22:23]
	global_load_dwordx4 v[10:13], v[0:1], off
	v_mul_f64 v[14:15], v[18:19], -v[4:5]
	v_mul_f64 v[18:19], v[2:3], v[18:19]
	v_fmac_f64_e32 v[14:15], v[2:3], v[16:17]
	v_fmac_f64_e32 v[18:19], v[4:5], v[16:17]
                                        ; implicit-def: $vgpr22_vgpr23
                                        ; implicit-def: $vgpr4_vgpr5
                                        ; implicit-def: $vgpr24_vgpr25
	s_waitcnt vmcnt(0)
	v_fmac_f64_e32 v[14:15], v[6:7], v[10:11]
	v_fmac_f64_e32 v[18:19], v[8:9], v[10:11]
	v_fma_f64 v[16:17], -v[8:9], v[12:13], v[14:15]
	v_fmac_f64_e32 v[18:19], v[6:7], v[12:13]
	global_store_dwordx4 v[0:1], v[16:19], off
                                        ; implicit-def: $vgpr18_vgpr19
                                        ; implicit-def: $vgpr16_vgpr17
                                        ; implicit-def: $vgpr14
.LBB36_43:
	s_andn2_saveexec_b64 s[4:5], s[4:5]
	s_cbranch_execz .LBB36_48
; %bb.44:
	v_mul_f64 v[0:1], v[18:19], -v[4:5]
	v_fmac_f64_e32 v[0:1], v[2:3], v[16:17]
	v_mul_f64 v[2:3], v[2:3], v[18:19]
	v_fmac_f64_e32 v[2:3], v[4:5], v[16:17]
	s_and_b64 vcc, exec, s[0:1]
	s_mov_b64 s[0:1], -1
	s_cbranch_vccnz .LBB36_46
; %bb.45:
	v_lshl_add_u64 v[4:5], v[14:15], 4, v[24:25]
	s_mov_b64 s[0:1], 0
	global_store_dwordx4 v[4:5], v[0:3], off
.LBB36_46:
	s_andn2_b64 vcc, exec, s[0:1]
	s_cbranch_vccnz .LBB36_48
; %bb.47:
	v_mul_lo_u32 v6, s3, v14
	v_mul_lo_u32 v7, s2, v15
	v_mad_u64_u32 v[4:5], s[0:1], s2, v14, 0
	v_add3_u32 v5, v5, v7, v6
	v_lshl_add_u64 v[4:5], v[4:5], 4, v[22:23]
	global_store_dwordx4 v[4:5], v[0:3], off
.LBB36_48:
	s_endpgm
	.section	.rodata,"a",@progbits
	.p2align	6, 0x0
	.amdhsa_kernel _ZN9rocsparseL31bsrmm_large_blockdim_kernel_extILj8ELj8ELj2Eii21rocsparse_complex_numIdES2_S2_S2_EEvb20rocsparse_direction_T3_S4_llNS_24const_host_device_scalarIT7_EEPKT2_PKS4_PKT4_S4_PKT5_llS7_PT6_ll16rocsparse_order_21rocsparse_index_base_b
		.amdhsa_group_segment_fixed_size 3072
		.amdhsa_private_segment_fixed_size 0
		.amdhsa_kernarg_size 156
		.amdhsa_user_sgpr_count 2
		.amdhsa_user_sgpr_dispatch_ptr 0
		.amdhsa_user_sgpr_queue_ptr 0
		.amdhsa_user_sgpr_kernarg_segment_ptr 1
		.amdhsa_user_sgpr_dispatch_id 0
		.amdhsa_user_sgpr_kernarg_preload_length 0
		.amdhsa_user_sgpr_kernarg_preload_offset 0
		.amdhsa_user_sgpr_private_segment_size 0
		.amdhsa_uses_dynamic_stack 0
		.amdhsa_enable_private_segment 0
		.amdhsa_system_sgpr_workgroup_id_x 1
		.amdhsa_system_sgpr_workgroup_id_y 1
		.amdhsa_system_sgpr_workgroup_id_z 0
		.amdhsa_system_sgpr_workgroup_info 0
		.amdhsa_system_vgpr_workitem_id 1
		.amdhsa_next_free_vgpr 44
		.amdhsa_next_free_sgpr 36
		.amdhsa_accum_offset 44
		.amdhsa_reserve_vcc 1
		.amdhsa_float_round_mode_32 0
		.amdhsa_float_round_mode_16_64 0
		.amdhsa_float_denorm_mode_32 3
		.amdhsa_float_denorm_mode_16_64 3
		.amdhsa_dx10_clamp 1
		.amdhsa_ieee_mode 1
		.amdhsa_fp16_overflow 0
		.amdhsa_tg_split 0
		.amdhsa_exception_fp_ieee_invalid_op 0
		.amdhsa_exception_fp_denorm_src 0
		.amdhsa_exception_fp_ieee_div_zero 0
		.amdhsa_exception_fp_ieee_overflow 0
		.amdhsa_exception_fp_ieee_underflow 0
		.amdhsa_exception_fp_ieee_inexact 0
		.amdhsa_exception_int_div_zero 0
	.end_amdhsa_kernel
	.section	.text._ZN9rocsparseL31bsrmm_large_blockdim_kernel_extILj8ELj8ELj2Eii21rocsparse_complex_numIdES2_S2_S2_EEvb20rocsparse_direction_T3_S4_llNS_24const_host_device_scalarIT7_EEPKT2_PKS4_PKT4_S4_PKT5_llS7_PT6_ll16rocsparse_order_21rocsparse_index_base_b,"axG",@progbits,_ZN9rocsparseL31bsrmm_large_blockdim_kernel_extILj8ELj8ELj2Eii21rocsparse_complex_numIdES2_S2_S2_EEvb20rocsparse_direction_T3_S4_llNS_24const_host_device_scalarIT7_EEPKT2_PKS4_PKT4_S4_PKT5_llS7_PT6_ll16rocsparse_order_21rocsparse_index_base_b,comdat
.Lfunc_end36:
	.size	_ZN9rocsparseL31bsrmm_large_blockdim_kernel_extILj8ELj8ELj2Eii21rocsparse_complex_numIdES2_S2_S2_EEvb20rocsparse_direction_T3_S4_llNS_24const_host_device_scalarIT7_EEPKT2_PKS4_PKT4_S4_PKT5_llS7_PT6_ll16rocsparse_order_21rocsparse_index_base_b, .Lfunc_end36-_ZN9rocsparseL31bsrmm_large_blockdim_kernel_extILj8ELj8ELj2Eii21rocsparse_complex_numIdES2_S2_S2_EEvb20rocsparse_direction_T3_S4_llNS_24const_host_device_scalarIT7_EEPKT2_PKS4_PKT4_S4_PKT5_llS7_PT6_ll16rocsparse_order_21rocsparse_index_base_b
                                        ; -- End function
	.set _ZN9rocsparseL31bsrmm_large_blockdim_kernel_extILj8ELj8ELj2Eii21rocsparse_complex_numIdES2_S2_S2_EEvb20rocsparse_direction_T3_S4_llNS_24const_host_device_scalarIT7_EEPKT2_PKS4_PKT4_S4_PKT5_llS7_PT6_ll16rocsparse_order_21rocsparse_index_base_b.num_vgpr, 44
	.set _ZN9rocsparseL31bsrmm_large_blockdim_kernel_extILj8ELj8ELj2Eii21rocsparse_complex_numIdES2_S2_S2_EEvb20rocsparse_direction_T3_S4_llNS_24const_host_device_scalarIT7_EEPKT2_PKS4_PKT4_S4_PKT5_llS7_PT6_ll16rocsparse_order_21rocsparse_index_base_b.num_agpr, 0
	.set _ZN9rocsparseL31bsrmm_large_blockdim_kernel_extILj8ELj8ELj2Eii21rocsparse_complex_numIdES2_S2_S2_EEvb20rocsparse_direction_T3_S4_llNS_24const_host_device_scalarIT7_EEPKT2_PKS4_PKT4_S4_PKT5_llS7_PT6_ll16rocsparse_order_21rocsparse_index_base_b.numbered_sgpr, 36
	.set _ZN9rocsparseL31bsrmm_large_blockdim_kernel_extILj8ELj8ELj2Eii21rocsparse_complex_numIdES2_S2_S2_EEvb20rocsparse_direction_T3_S4_llNS_24const_host_device_scalarIT7_EEPKT2_PKS4_PKT4_S4_PKT5_llS7_PT6_ll16rocsparse_order_21rocsparse_index_base_b.num_named_barrier, 0
	.set _ZN9rocsparseL31bsrmm_large_blockdim_kernel_extILj8ELj8ELj2Eii21rocsparse_complex_numIdES2_S2_S2_EEvb20rocsparse_direction_T3_S4_llNS_24const_host_device_scalarIT7_EEPKT2_PKS4_PKT4_S4_PKT5_llS7_PT6_ll16rocsparse_order_21rocsparse_index_base_b.private_seg_size, 0
	.set _ZN9rocsparseL31bsrmm_large_blockdim_kernel_extILj8ELj8ELj2Eii21rocsparse_complex_numIdES2_S2_S2_EEvb20rocsparse_direction_T3_S4_llNS_24const_host_device_scalarIT7_EEPKT2_PKS4_PKT4_S4_PKT5_llS7_PT6_ll16rocsparse_order_21rocsparse_index_base_b.uses_vcc, 1
	.set _ZN9rocsparseL31bsrmm_large_blockdim_kernel_extILj8ELj8ELj2Eii21rocsparse_complex_numIdES2_S2_S2_EEvb20rocsparse_direction_T3_S4_llNS_24const_host_device_scalarIT7_EEPKT2_PKS4_PKT4_S4_PKT5_llS7_PT6_ll16rocsparse_order_21rocsparse_index_base_b.uses_flat_scratch, 0
	.set _ZN9rocsparseL31bsrmm_large_blockdim_kernel_extILj8ELj8ELj2Eii21rocsparse_complex_numIdES2_S2_S2_EEvb20rocsparse_direction_T3_S4_llNS_24const_host_device_scalarIT7_EEPKT2_PKS4_PKT4_S4_PKT5_llS7_PT6_ll16rocsparse_order_21rocsparse_index_base_b.has_dyn_sized_stack, 0
	.set _ZN9rocsparseL31bsrmm_large_blockdim_kernel_extILj8ELj8ELj2Eii21rocsparse_complex_numIdES2_S2_S2_EEvb20rocsparse_direction_T3_S4_llNS_24const_host_device_scalarIT7_EEPKT2_PKS4_PKT4_S4_PKT5_llS7_PT6_ll16rocsparse_order_21rocsparse_index_base_b.has_recursion, 0
	.set _ZN9rocsparseL31bsrmm_large_blockdim_kernel_extILj8ELj8ELj2Eii21rocsparse_complex_numIdES2_S2_S2_EEvb20rocsparse_direction_T3_S4_llNS_24const_host_device_scalarIT7_EEPKT2_PKS4_PKT4_S4_PKT5_llS7_PT6_ll16rocsparse_order_21rocsparse_index_base_b.has_indirect_call, 0
	.section	.AMDGPU.csdata,"",@progbits
; Kernel info:
; codeLenInByte = 1900
; TotalNumSgprs: 42
; NumVgprs: 44
; NumAgprs: 0
; TotalNumVgprs: 44
; ScratchSize: 0
; MemoryBound: 0
; FloatMode: 240
; IeeeMode: 1
; LDSByteSize: 3072 bytes/workgroup (compile time only)
; SGPRBlocks: 5
; VGPRBlocks: 5
; NumSGPRsForWavesPerEU: 42
; NumVGPRsForWavesPerEU: 44
; AccumOffset: 44
; Occupancy: 8
; WaveLimiterHint : 0
; COMPUTE_PGM_RSRC2:SCRATCH_EN: 0
; COMPUTE_PGM_RSRC2:USER_SGPR: 2
; COMPUTE_PGM_RSRC2:TRAP_HANDLER: 0
; COMPUTE_PGM_RSRC2:TGID_X_EN: 1
; COMPUTE_PGM_RSRC2:TGID_Y_EN: 1
; COMPUTE_PGM_RSRC2:TGID_Z_EN: 0
; COMPUTE_PGM_RSRC2:TIDIG_COMP_CNT: 1
; COMPUTE_PGM_RSRC3_GFX90A:ACCUM_OFFSET: 10
; COMPUTE_PGM_RSRC3_GFX90A:TG_SPLIT: 0
	.section	.text._ZN9rocsparseL31bsrmm_large_blockdim_kernel_extILj4ELj16ELj2Eii21rocsparse_complex_numIdES2_S2_S2_EEvb20rocsparse_direction_T3_S4_llNS_24const_host_device_scalarIT7_EEPKT2_PKS4_PKT4_S4_PKT5_llS7_PT6_ll16rocsparse_order_21rocsparse_index_base_b,"axG",@progbits,_ZN9rocsparseL31bsrmm_large_blockdim_kernel_extILj4ELj16ELj2Eii21rocsparse_complex_numIdES2_S2_S2_EEvb20rocsparse_direction_T3_S4_llNS_24const_host_device_scalarIT7_EEPKT2_PKS4_PKT4_S4_PKT5_llS7_PT6_ll16rocsparse_order_21rocsparse_index_base_b,comdat
	.globl	_ZN9rocsparseL31bsrmm_large_blockdim_kernel_extILj4ELj16ELj2Eii21rocsparse_complex_numIdES2_S2_S2_EEvb20rocsparse_direction_T3_S4_llNS_24const_host_device_scalarIT7_EEPKT2_PKS4_PKT4_S4_PKT5_llS7_PT6_ll16rocsparse_order_21rocsparse_index_base_b ; -- Begin function _ZN9rocsparseL31bsrmm_large_blockdim_kernel_extILj4ELj16ELj2Eii21rocsparse_complex_numIdES2_S2_S2_EEvb20rocsparse_direction_T3_S4_llNS_24const_host_device_scalarIT7_EEPKT2_PKS4_PKT4_S4_PKT5_llS7_PT6_ll16rocsparse_order_21rocsparse_index_base_b
	.p2align	8
	.type	_ZN9rocsparseL31bsrmm_large_blockdim_kernel_extILj4ELj16ELj2Eii21rocsparse_complex_numIdES2_S2_S2_EEvb20rocsparse_direction_T3_S4_llNS_24const_host_device_scalarIT7_EEPKT2_PKS4_PKT4_S4_PKT5_llS7_PT6_ll16rocsparse_order_21rocsparse_index_base_b,@function
_ZN9rocsparseL31bsrmm_large_blockdim_kernel_extILj4ELj16ELj2Eii21rocsparse_complex_numIdES2_S2_S2_EEvb20rocsparse_direction_T3_S4_llNS_24const_host_device_scalarIT7_EEPKT2_PKS4_PKT4_S4_PKT5_llS7_PT6_ll16rocsparse_order_21rocsparse_index_base_b: ; @_ZN9rocsparseL31bsrmm_large_blockdim_kernel_extILj4ELj16ELj2Eii21rocsparse_complex_numIdES2_S2_S2_EEvb20rocsparse_direction_T3_S4_llNS_24const_host_device_scalarIT7_EEPKT2_PKS4_PKT4_S4_PKT5_llS7_PT6_ll16rocsparse_order_21rocsparse_index_base_b
; %bb.0:
	s_load_dwordx2 s[6:7], s[0:1], 0x20
	s_load_dwordx4 s[16:19], s[0:1], 0x90
	s_mov_b32 s4, s3
	s_add_u32 s3, s0, 32
	s_addc_u32 s5, s1, 0
	s_add_u32 s10, s0, 0x68
	s_load_dwordx2 s[8:9], s[0:1], 0x68
	s_addc_u32 s11, s1, 0
	s_waitcnt lgkmcnt(0)
	s_bitcmp1_b32 s18, 0
	s_cselect_b32 s5, s5, s7
	s_cselect_b32 s3, s3, s6
	v_mov_b32_e32 v2, s3
	v_mov_b32_e32 v3, s5
	flat_load_dwordx4 v[2:5], v[2:3]
	s_cselect_b32 s3, s11, s9
	s_cselect_b32 s5, s10, s8
	v_mov_b32_e32 v6, s5
	v_mov_b32_e32 v7, s3
	flat_load_dwordx4 v[6:9], v[6:7]
	s_waitcnt vmcnt(0) lgkmcnt(0)
	v_cmp_eq_f64_e32 vcc, 0, v[2:3]
	v_cmp_eq_f64_e64 s[6:7], 0, v[4:5]
	s_and_b64 s[10:11], vcc, s[6:7]
	s_mov_b64 s[6:7], -1
	s_and_saveexec_b64 s[8:9], s[10:11]
; %bb.1:
	v_cmp_neq_f64_e32 vcc, 1.0, v[6:7]
	v_cmp_neq_f64_e64 s[6:7], 0, v[8:9]
	s_or_b64 s[6:7], vcc, s[6:7]
	s_orn2_b64 s[6:7], s[6:7], exec
; %bb.2:
	s_or_b64 exec, exec, s[8:9]
	s_and_saveexec_b64 s[8:9], s[6:7]
	s_cbranch_execz .LBB37_48
; %bb.3:
	s_load_dwordx4 s[12:15], s[0:1], 0x0
	s_load_dwordx2 s[6:7], s[0:1], 0x30
	s_mov_b32 s33, 0
	s_mov_b32 s30, 0
	s_waitcnt lgkmcnt(0)
	s_cmp_lt_i32 s2, s14
	s_cselect_b64 s[18:19], -1, 0
	s_cmp_ge_i32 s2, s14
	s_cbranch_scc1 .LBB37_5
; %bb.4:
	s_ashr_i32 s3, s2, 31
	s_lshl_b64 s[8:9], s[2:3], 2
	s_add_u32 s8, s6, s8
	s_addc_u32 s9, s7, s9
	s_load_dword s3, s[8:9], 0x0
	s_waitcnt lgkmcnt(0)
	s_sub_i32 s30, s3, s17
.LBB37_5:
	s_andn2_b64 vcc, exec, s[18:19]
	s_cbranch_vccnz .LBB37_7
; %bb.6:
	s_ashr_i32 s3, s2, 31
	s_lshl_b64 s[8:9], s[2:3], 2
	s_add_u32 s6, s6, s8
	s_addc_u32 s7, s7, s9
	s_load_dword s3, s[6:7], 0x4
	s_waitcnt lgkmcnt(0)
	s_sub_i32 s33, s3, s17
.LBB37_7:
	s_load_dwordx2 s[28:29], s[0:1], 0x78
	s_load_dword s3, s[0:1], 0x48
	v_bfe_u32 v22, v0, 10, 10
	v_lshl_add_u32 v20, s4, 5, v22
	v_add_u32_e32 v14, 16, v20
	v_and_b32_e32 v10, 0x3ff, v0
	s_waitcnt lgkmcnt(0)
	v_cmp_gt_i32_e32 vcc, s3, v10
	v_mov_b64_e32 v[0:1], 0
	s_cmp_ge_i32 s30, s33
	v_cmp_gt_i32_e64 s[4:5], s15, v20
	v_cmp_gt_i32_e64 s[6:7], s15, v14
	v_mov_b64_e32 v[12:13], 0
	v_mov_b64_e32 v[16:17], 0
	;; [unrolled: 1-line block ×3, first 2 shown]
	s_cbranch_scc1 .LBB37_25
; %bb.8:
	s_load_dwordx4 s[20:23], s[0:1], 0x38
	s_load_dwordx4 s[24:27], s[0:1], 0x50
	v_lshlrev_b32_e32 v11, 6, v22
	v_cmp_gt_i32_e64 s[8:9], s3, v22
	v_mad_u64_u32 v[0:1], s[10:11], s3, v22, v[10:11]
	s_and_b64 s[34:35], vcc, s[8:9]
	v_mov_b32_e32 v1, 0x800
	s_bitcmp1_b32 s12, 0
	v_lshl_add_u32 v31, v10, 6, v1
	v_mad_u64_u32 v[12:13], s[10:11], s3, v10, v[22:23]
	v_ashrrev_i32_e32 v21, 31, v20
	s_cselect_b64 s[8:9], -1, 0
	s_cmp_eq_u32 s13, 0
	v_lshl_add_u32 v32, v22, 4, v31
	s_waitcnt lgkmcnt(0)
	v_mul_lo_u32 v1, s27, v20
	v_mul_lo_u32 v13, s26, v21
	v_mad_u64_u32 v[22:23], s[10:11], s26, v20, 0
	v_ashrrev_i32_e32 v15, 31, v14
	v_mad_u64_u32 v[24:25], s[10:11], s26, v14, 0
	v_lshl_add_u32 v30, v10, 4, v11
	v_add3_u32 v23, v23, v13, v1
	v_mul_lo_u32 v1, s27, v14
	v_mul_lo_u32 v13, s26, v15
	s_cselect_b64 s[10:11], -1, 0
	s_mul_i32 s14, s3, s3
	v_add_u32_e32 v33, 0x400, v30
	v_add3_u32 v25, v25, v13, v1
	v_cndmask_b32_e64 v34, v0, v12, s[10:11]
	v_add_u32_e32 v35, 0x400, v11
	v_mov_b64_e32 v[18:19], 0
	v_mov_b64_e32 v[16:17], 0
	;; [unrolled: 1-line block ×4, first 2 shown]
	s_branch .LBB37_11
.LBB37_9:                               ;   in Loop: Header=BB37_11 Depth=1
	s_or_b64 exec, exec, s[12:13]
.LBB37_10:                              ;   in Loop: Header=BB37_11 Depth=1
	s_or_b64 exec, exec, s[10:11]
	s_add_i32 s30, s30, 1
	s_cmp_ge_i32 s30, s33
	; wave barrier
	s_cbranch_scc1 .LBB37_25
.LBB37_11:                              ; =>This Loop Header: Depth=1
                                        ;     Child Loop BB37_21 Depth 2
                                        ;     Child Loop BB37_24 Depth 2
	s_and_saveexec_b64 s[10:11], vcc
	s_cbranch_execz .LBB37_16
; %bb.12:                               ;   in Loop: Header=BB37_11 Depth=1
	s_ashr_i32 s31, s30, 31
	s_lshl_b64 s[12:13], s[30:31], 2
	s_add_u32 s12, s20, s12
	s_addc_u32 s13, s21, s13
	s_load_dword s12, s[12:13], 0x0
	s_waitcnt lgkmcnt(0)
	s_sub_i32 s12, s12, s17
	s_mul_i32 s12, s12, s3
	v_add_u32_e32 v28, s12, v10
	v_ashrrev_i32_e32 v29, 31, v28
	v_mul_lo_u32 v36, s27, v28
	v_mad_u64_u32 v[26:27], s[12:13], s26, v28, 0
	v_mul_lo_u32 v37, s26, v29
	v_add3_u32 v27, v27, v37, v36
	v_lshl_add_u64 v[26:27], v[26:27], 4, s[24:25]
	v_lshl_add_u64 v[28:29], v[28:29], 4, s[24:25]
	s_and_saveexec_b64 s[12:13], s[4:5]
	s_cbranch_execz .LBB37_14
; %bb.13:                               ;   in Loop: Header=BB37_11 Depth=1
	v_lshl_add_u64 v[36:37], v[22:23], 4, v[28:29]
	v_lshl_add_u64 v[38:39], v[20:21], 4, v[26:27]
	v_cndmask_b32_e64 v37, v39, v37, s[8:9]
	v_cndmask_b32_e64 v36, v38, v36, s[8:9]
	global_load_dwordx4 v[36:39], v[36:37], off
	s_waitcnt vmcnt(0)
	ds_write2_b64 v30, v[36:37], v[38:39] offset1:1
.LBB37_14:                              ;   in Loop: Header=BB37_11 Depth=1
	s_or_b64 exec, exec, s[12:13]
	s_and_b64 exec, exec, s[6:7]
	s_cbranch_execz .LBB37_16
; %bb.15:                               ;   in Loop: Header=BB37_11 Depth=1
	v_lshl_add_u64 v[28:29], v[24:25], 4, v[28:29]
	v_lshl_add_u64 v[26:27], v[14:15], 4, v[26:27]
	v_cndmask_b32_e64 v27, v27, v29, s[8:9]
	v_cndmask_b32_e64 v26, v26, v28, s[8:9]
	global_load_dwordx4 v[26:29], v[26:27], off
	s_waitcnt vmcnt(0)
	ds_write2_b64 v33, v[26:27], v[28:29] offset1:1
.LBB37_16:                              ;   in Loop: Header=BB37_11 Depth=1
	s_or_b64 exec, exec, s[10:11]
	s_and_saveexec_b64 s[10:11], s[34:35]
	s_cbranch_execz .LBB37_18
; %bb.17:                               ;   in Loop: Header=BB37_11 Depth=1
	s_mul_i32 s12, s14, s30
	v_add_u32_e32 v26, s12, v34
	v_ashrrev_i32_e32 v27, 31, v26
	v_lshl_add_u64 v[26:27], v[26:27], 4, s[22:23]
	global_load_dwordx4 v[26:29], v[26:27], off
	s_waitcnt vmcnt(0)
	ds_write2_b64 v32, v[26:27], v[28:29] offset1:1
.LBB37_18:                              ;   in Loop: Header=BB37_11 Depth=1
	s_or_b64 exec, exec, s[10:11]
	s_waitcnt lgkmcnt(0)
	; wave barrier
	s_and_saveexec_b64 s[10:11], vcc
	s_cbranch_execz .LBB37_10
; %bb.19:                               ;   in Loop: Header=BB37_11 Depth=1
	s_and_saveexec_b64 s[12:13], s[4:5]
	s_cbranch_execz .LBB37_22
; %bb.20:                               ;   in Loop: Header=BB37_11 Depth=1
	v_mov_b32_e32 v26, v31
	v_mov_b32_e32 v27, v11
	s_mov_b32 s31, s3
.LBB37_21:                              ;   Parent Loop BB37_11 Depth=1
                                        ; =>  This Inner Loop Header: Depth=2
	ds_read_b128 v[36:39], v26
	ds_read_b128 v[40:43], v27
	s_add_i32 s31, s31, -1
	v_add_u32_e32 v27, 16, v27
	v_add_u32_e32 v26, 16, v26
	s_cmp_lg_u32 s31, 0
	s_waitcnt lgkmcnt(0)
	v_fmac_f64_e32 v[0:1], v[36:37], v[40:41]
	v_fmac_f64_e32 v[12:13], v[38:39], v[40:41]
	v_fma_f64 v[0:1], -v[38:39], v[42:43], v[0:1]
	v_fmac_f64_e32 v[12:13], v[36:37], v[42:43]
	s_cbranch_scc1 .LBB37_21
.LBB37_22:                              ;   in Loop: Header=BB37_11 Depth=1
	s_or_b64 exec, exec, s[12:13]
	s_and_saveexec_b64 s[12:13], s[6:7]
	s_cbranch_execz .LBB37_9
; %bb.23:                               ;   in Loop: Header=BB37_11 Depth=1
	v_mov_b32_e32 v26, v31
	s_mov_b32 s31, s3
	v_mov_b32_e32 v27, v35
.LBB37_24:                              ;   Parent Loop BB37_11 Depth=1
                                        ; =>  This Inner Loop Header: Depth=2
	ds_read_b128 v[36:39], v26
	ds_read_b128 v[40:43], v27
	s_add_i32 s31, s31, -1
	v_add_u32_e32 v27, 16, v27
	v_add_u32_e32 v26, 16, v26
	s_cmp_lg_u32 s31, 0
	s_waitcnt lgkmcnt(0)
	v_fmac_f64_e32 v[16:17], v[36:37], v[40:41]
	v_fmac_f64_e32 v[18:19], v[38:39], v[40:41]
	v_fma_f64 v[16:17], -v[38:39], v[42:43], v[16:17]
	v_fmac_f64_e32 v[18:19], v[36:37], v[42:43]
	s_cbranch_scc1 .LBB37_24
	s_branch .LBB37_9
.LBB37_25:
	s_and_b64 s[4:5], s[18:19], vcc
	s_and_b64 exec, exec, s[4:5]
	s_cbranch_execz .LBB37_48
; %bb.26:
	s_mul_i32 s2, s3, s2
	v_add_u32_e32 v10, s2, v10
	s_load_dwordx2 s[2:3], s[0:1], 0x80
	v_cmp_neq_f64_e32 vcc, 0, v[6:7]
	v_cmp_neq_f64_e64 s[0:1], 0, v[8:9]
	v_ashrrev_i32_e32 v11, 31, v10
	s_or_b64 s[4:5], vcc, s[0:1]
	s_waitcnt lgkmcnt(0)
	v_mul_lo_u32 v15, s2, v11
	v_mul_lo_u32 v21, s3, v10
	v_mad_u64_u32 v[22:23], s[6:7], s2, v10, 0
	s_cmp_lg_u32 s16, 1
	v_add3_u32 v23, v23, v15, v21
	s_cselect_b64 s[0:1], -1, 0
	v_lshl_add_u64 v[24:25], v[22:23], 4, s[28:29]
	v_lshl_add_u64 v[22:23], v[10:11], 4, s[28:29]
	v_cmp_gt_i32_e32 vcc, s15, v20
	s_and_saveexec_b64 s[6:7], vcc
	s_cbranch_execz .LBB37_37
; %bb.27:
	v_ashrrev_i32_e32 v21, 31, v20
	s_and_saveexec_b64 s[8:9], s[4:5]
	s_xor_b64 s[8:9], exec, s[8:9]
	s_cbranch_execz .LBB37_32
; %bb.28:
	s_mov_b64 s[10:11], -1
	s_and_b64 vcc, exec, s[0:1]
	s_cbranch_vccz .LBB37_30
; %bb.29:
	v_lshl_add_u64 v[10:11], v[20:21], 4, v[24:25]
	global_load_dwordx4 v[26:29], v[10:11], off
	v_mul_f64 v[30:31], v[12:13], -v[4:5]
	v_mul_f64 v[32:33], v[2:3], v[12:13]
	v_fmac_f64_e32 v[30:31], v[2:3], v[0:1]
	v_fmac_f64_e32 v[32:33], v[4:5], v[0:1]
	s_mov_b64 s[10:11], 0
	s_waitcnt vmcnt(0)
	v_fmac_f64_e32 v[30:31], v[6:7], v[26:27]
	v_fmac_f64_e32 v[32:33], v[8:9], v[26:27]
	v_fma_f64 v[30:31], -v[8:9], v[28:29], v[30:31]
	v_fmac_f64_e32 v[32:33], v[6:7], v[28:29]
	global_store_dwordx4 v[10:11], v[30:33], off
.LBB37_30:
	s_andn2_b64 vcc, exec, s[10:11]
	s_cbranch_vccnz .LBB37_32
; %bb.31:
	v_mul_lo_u32 v15, s3, v20
	v_mul_lo_u32 v21, s2, v21
	v_mad_u64_u32 v[10:11], s[10:11], s2, v20, 0
	v_add3_u32 v11, v11, v21, v15
	v_lshl_add_u64 v[20:21], v[10:11], 4, v[22:23]
	global_load_dwordx4 v[26:29], v[20:21], off
	v_mul_f64 v[10:11], v[12:13], -v[4:5]
	v_mul_f64 v[12:13], v[2:3], v[12:13]
	v_fmac_f64_e32 v[10:11], v[2:3], v[0:1]
	v_fmac_f64_e32 v[12:13], v[4:5], v[0:1]
                                        ; implicit-def: $vgpr0_vgpr1
	s_waitcnt vmcnt(0)
	v_fmac_f64_e32 v[10:11], v[6:7], v[26:27]
	v_fmac_f64_e32 v[12:13], v[8:9], v[26:27]
	v_fma_f64 v[10:11], -v[8:9], v[28:29], v[10:11]
	v_fmac_f64_e32 v[12:13], v[6:7], v[28:29]
	global_store_dwordx4 v[20:21], v[10:13], off
                                        ; implicit-def: $vgpr12_vgpr13
                                        ; implicit-def: $vgpr20
.LBB37_32:
	s_andn2_saveexec_b64 s[8:9], s[8:9]
	s_cbranch_execz .LBB37_37
; %bb.33:
	v_mul_f64 v[10:11], v[12:13], -v[4:5]
	v_mul_f64 v[12:13], v[2:3], v[12:13]
	v_fmac_f64_e32 v[10:11], v[2:3], v[0:1]
	v_fmac_f64_e32 v[12:13], v[4:5], v[0:1]
	s_mov_b64 s[8:9], -1
	s_and_b64 vcc, exec, s[0:1]
	s_cbranch_vccz .LBB37_35
; %bb.34:
	v_lshl_add_u64 v[0:1], v[20:21], 4, v[24:25]
	global_store_dwordx4 v[0:1], v[10:13], off
	s_mov_b64 s[8:9], 0
.LBB37_35:
	s_andn2_b64 vcc, exec, s[8:9]
	s_cbranch_vccnz .LBB37_37
; %bb.36:
	v_mul_lo_u32 v15, s3, v20
	v_mul_lo_u32 v21, s2, v21
	v_mad_u64_u32 v[0:1], s[8:9], s2, v20, 0
	v_add3_u32 v1, v1, v21, v15
	v_lshl_add_u64 v[0:1], v[0:1], 4, v[22:23]
	global_store_dwordx4 v[0:1], v[10:13], off
.LBB37_37:
	s_or_b64 exec, exec, s[6:7]
	v_cmp_gt_i32_e32 vcc, s15, v14
	s_and_b64 exec, exec, vcc
	s_cbranch_execz .LBB37_48
; %bb.38:
	v_cndmask_b32_e64 v0, 0, 1, s[0:1]
	v_ashrrev_i32_e32 v15, 31, v14
	v_cmp_ne_u32_e64 s[0:1], 1, v0
	s_and_saveexec_b64 s[6:7], s[4:5]
	s_xor_b64 s[4:5], exec, s[6:7]
	s_cbranch_execz .LBB37_43
; %bb.39:
	s_and_b64 vcc, exec, s[0:1]
	s_mov_b64 s[6:7], -1
	s_cbranch_vccnz .LBB37_41
; %bb.40:
	v_lshl_add_u64 v[0:1], v[14:15], 4, v[24:25]
	global_load_dwordx4 v[10:13], v[0:1], off
	v_mul_f64 v[20:21], v[18:19], -v[4:5]
	v_mul_f64 v[26:27], v[2:3], v[18:19]
	v_fmac_f64_e32 v[20:21], v[2:3], v[16:17]
	v_fmac_f64_e32 v[26:27], v[4:5], v[16:17]
	s_mov_b64 s[6:7], 0
	s_waitcnt vmcnt(0)
	v_fmac_f64_e32 v[20:21], v[6:7], v[10:11]
	v_fmac_f64_e32 v[26:27], v[8:9], v[10:11]
	v_fma_f64 v[24:25], -v[8:9], v[12:13], v[20:21]
	v_fmac_f64_e32 v[26:27], v[6:7], v[12:13]
	global_store_dwordx4 v[0:1], v[24:27], off
.LBB37_41:
	s_andn2_b64 vcc, exec, s[6:7]
                                        ; implicit-def: $vgpr24_vgpr25
	s_cbranch_vccnz .LBB37_43
; %bb.42:
	v_mul_lo_u32 v10, s3, v14
	v_mul_lo_u32 v11, s2, v15
	v_mad_u64_u32 v[0:1], s[6:7], s2, v14, 0
	v_add3_u32 v1, v1, v11, v10
	v_lshl_add_u64 v[0:1], v[0:1], 4, v[22:23]
	global_load_dwordx4 v[10:13], v[0:1], off
	v_mul_f64 v[14:15], v[18:19], -v[4:5]
	v_mul_f64 v[18:19], v[2:3], v[18:19]
	v_fmac_f64_e32 v[14:15], v[2:3], v[16:17]
	v_fmac_f64_e32 v[18:19], v[4:5], v[16:17]
                                        ; implicit-def: $vgpr22_vgpr23
                                        ; implicit-def: $vgpr4_vgpr5
                                        ; implicit-def: $vgpr24_vgpr25
	s_waitcnt vmcnt(0)
	v_fmac_f64_e32 v[14:15], v[6:7], v[10:11]
	v_fmac_f64_e32 v[18:19], v[8:9], v[10:11]
	v_fma_f64 v[16:17], -v[8:9], v[12:13], v[14:15]
	v_fmac_f64_e32 v[18:19], v[6:7], v[12:13]
	global_store_dwordx4 v[0:1], v[16:19], off
                                        ; implicit-def: $vgpr18_vgpr19
                                        ; implicit-def: $vgpr16_vgpr17
                                        ; implicit-def: $vgpr14
.LBB37_43:
	s_andn2_saveexec_b64 s[4:5], s[4:5]
	s_cbranch_execz .LBB37_48
; %bb.44:
	v_mul_f64 v[0:1], v[18:19], -v[4:5]
	v_fmac_f64_e32 v[0:1], v[2:3], v[16:17]
	v_mul_f64 v[2:3], v[2:3], v[18:19]
	v_fmac_f64_e32 v[2:3], v[4:5], v[16:17]
	s_and_b64 vcc, exec, s[0:1]
	s_mov_b64 s[0:1], -1
	s_cbranch_vccnz .LBB37_46
; %bb.45:
	v_lshl_add_u64 v[4:5], v[14:15], 4, v[24:25]
	s_mov_b64 s[0:1], 0
	global_store_dwordx4 v[4:5], v[0:3], off
.LBB37_46:
	s_andn2_b64 vcc, exec, s[0:1]
	s_cbranch_vccnz .LBB37_48
; %bb.47:
	v_mul_lo_u32 v6, s3, v14
	v_mul_lo_u32 v7, s2, v15
	v_mad_u64_u32 v[4:5], s[0:1], s2, v14, 0
	v_add3_u32 v5, v5, v7, v6
	v_lshl_add_u64 v[4:5], v[4:5], 4, v[22:23]
	global_store_dwordx4 v[4:5], v[0:3], off
.LBB37_48:
	s_endpgm
	.section	.rodata,"a",@progbits
	.p2align	6, 0x0
	.amdhsa_kernel _ZN9rocsparseL31bsrmm_large_blockdim_kernel_extILj4ELj16ELj2Eii21rocsparse_complex_numIdES2_S2_S2_EEvb20rocsparse_direction_T3_S4_llNS_24const_host_device_scalarIT7_EEPKT2_PKS4_PKT4_S4_PKT5_llS7_PT6_ll16rocsparse_order_21rocsparse_index_base_b
		.amdhsa_group_segment_fixed_size 2304
		.amdhsa_private_segment_fixed_size 0
		.amdhsa_kernarg_size 156
		.amdhsa_user_sgpr_count 2
		.amdhsa_user_sgpr_dispatch_ptr 0
		.amdhsa_user_sgpr_queue_ptr 0
		.amdhsa_user_sgpr_kernarg_segment_ptr 1
		.amdhsa_user_sgpr_dispatch_id 0
		.amdhsa_user_sgpr_kernarg_preload_length 0
		.amdhsa_user_sgpr_kernarg_preload_offset 0
		.amdhsa_user_sgpr_private_segment_size 0
		.amdhsa_uses_dynamic_stack 0
		.amdhsa_enable_private_segment 0
		.amdhsa_system_sgpr_workgroup_id_x 1
		.amdhsa_system_sgpr_workgroup_id_y 1
		.amdhsa_system_sgpr_workgroup_id_z 0
		.amdhsa_system_sgpr_workgroup_info 0
		.amdhsa_system_vgpr_workitem_id 1
		.amdhsa_next_free_vgpr 44
		.amdhsa_next_free_sgpr 36
		.amdhsa_accum_offset 44
		.amdhsa_reserve_vcc 1
		.amdhsa_float_round_mode_32 0
		.amdhsa_float_round_mode_16_64 0
		.amdhsa_float_denorm_mode_32 3
		.amdhsa_float_denorm_mode_16_64 3
		.amdhsa_dx10_clamp 1
		.amdhsa_ieee_mode 1
		.amdhsa_fp16_overflow 0
		.amdhsa_tg_split 0
		.amdhsa_exception_fp_ieee_invalid_op 0
		.amdhsa_exception_fp_denorm_src 0
		.amdhsa_exception_fp_ieee_div_zero 0
		.amdhsa_exception_fp_ieee_overflow 0
		.amdhsa_exception_fp_ieee_underflow 0
		.amdhsa_exception_fp_ieee_inexact 0
		.amdhsa_exception_int_div_zero 0
	.end_amdhsa_kernel
	.section	.text._ZN9rocsparseL31bsrmm_large_blockdim_kernel_extILj4ELj16ELj2Eii21rocsparse_complex_numIdES2_S2_S2_EEvb20rocsparse_direction_T3_S4_llNS_24const_host_device_scalarIT7_EEPKT2_PKS4_PKT4_S4_PKT5_llS7_PT6_ll16rocsparse_order_21rocsparse_index_base_b,"axG",@progbits,_ZN9rocsparseL31bsrmm_large_blockdim_kernel_extILj4ELj16ELj2Eii21rocsparse_complex_numIdES2_S2_S2_EEvb20rocsparse_direction_T3_S4_llNS_24const_host_device_scalarIT7_EEPKT2_PKS4_PKT4_S4_PKT5_llS7_PT6_ll16rocsparse_order_21rocsparse_index_base_b,comdat
.Lfunc_end37:
	.size	_ZN9rocsparseL31bsrmm_large_blockdim_kernel_extILj4ELj16ELj2Eii21rocsparse_complex_numIdES2_S2_S2_EEvb20rocsparse_direction_T3_S4_llNS_24const_host_device_scalarIT7_EEPKT2_PKS4_PKT4_S4_PKT5_llS7_PT6_ll16rocsparse_order_21rocsparse_index_base_b, .Lfunc_end37-_ZN9rocsparseL31bsrmm_large_blockdim_kernel_extILj4ELj16ELj2Eii21rocsparse_complex_numIdES2_S2_S2_EEvb20rocsparse_direction_T3_S4_llNS_24const_host_device_scalarIT7_EEPKT2_PKS4_PKT4_S4_PKT5_llS7_PT6_ll16rocsparse_order_21rocsparse_index_base_b
                                        ; -- End function
	.set _ZN9rocsparseL31bsrmm_large_blockdim_kernel_extILj4ELj16ELj2Eii21rocsparse_complex_numIdES2_S2_S2_EEvb20rocsparse_direction_T3_S4_llNS_24const_host_device_scalarIT7_EEPKT2_PKS4_PKT4_S4_PKT5_llS7_PT6_ll16rocsparse_order_21rocsparse_index_base_b.num_vgpr, 44
	.set _ZN9rocsparseL31bsrmm_large_blockdim_kernel_extILj4ELj16ELj2Eii21rocsparse_complex_numIdES2_S2_S2_EEvb20rocsparse_direction_T3_S4_llNS_24const_host_device_scalarIT7_EEPKT2_PKS4_PKT4_S4_PKT5_llS7_PT6_ll16rocsparse_order_21rocsparse_index_base_b.num_agpr, 0
	.set _ZN9rocsparseL31bsrmm_large_blockdim_kernel_extILj4ELj16ELj2Eii21rocsparse_complex_numIdES2_S2_S2_EEvb20rocsparse_direction_T3_S4_llNS_24const_host_device_scalarIT7_EEPKT2_PKS4_PKT4_S4_PKT5_llS7_PT6_ll16rocsparse_order_21rocsparse_index_base_b.numbered_sgpr, 36
	.set _ZN9rocsparseL31bsrmm_large_blockdim_kernel_extILj4ELj16ELj2Eii21rocsparse_complex_numIdES2_S2_S2_EEvb20rocsparse_direction_T3_S4_llNS_24const_host_device_scalarIT7_EEPKT2_PKS4_PKT4_S4_PKT5_llS7_PT6_ll16rocsparse_order_21rocsparse_index_base_b.num_named_barrier, 0
	.set _ZN9rocsparseL31bsrmm_large_blockdim_kernel_extILj4ELj16ELj2Eii21rocsparse_complex_numIdES2_S2_S2_EEvb20rocsparse_direction_T3_S4_llNS_24const_host_device_scalarIT7_EEPKT2_PKS4_PKT4_S4_PKT5_llS7_PT6_ll16rocsparse_order_21rocsparse_index_base_b.private_seg_size, 0
	.set _ZN9rocsparseL31bsrmm_large_blockdim_kernel_extILj4ELj16ELj2Eii21rocsparse_complex_numIdES2_S2_S2_EEvb20rocsparse_direction_T3_S4_llNS_24const_host_device_scalarIT7_EEPKT2_PKS4_PKT4_S4_PKT5_llS7_PT6_ll16rocsparse_order_21rocsparse_index_base_b.uses_vcc, 1
	.set _ZN9rocsparseL31bsrmm_large_blockdim_kernel_extILj4ELj16ELj2Eii21rocsparse_complex_numIdES2_S2_S2_EEvb20rocsparse_direction_T3_S4_llNS_24const_host_device_scalarIT7_EEPKT2_PKS4_PKT4_S4_PKT5_llS7_PT6_ll16rocsparse_order_21rocsparse_index_base_b.uses_flat_scratch, 0
	.set _ZN9rocsparseL31bsrmm_large_blockdim_kernel_extILj4ELj16ELj2Eii21rocsparse_complex_numIdES2_S2_S2_EEvb20rocsparse_direction_T3_S4_llNS_24const_host_device_scalarIT7_EEPKT2_PKS4_PKT4_S4_PKT5_llS7_PT6_ll16rocsparse_order_21rocsparse_index_base_b.has_dyn_sized_stack, 0
	.set _ZN9rocsparseL31bsrmm_large_blockdim_kernel_extILj4ELj16ELj2Eii21rocsparse_complex_numIdES2_S2_S2_EEvb20rocsparse_direction_T3_S4_llNS_24const_host_device_scalarIT7_EEPKT2_PKS4_PKT4_S4_PKT5_llS7_PT6_ll16rocsparse_order_21rocsparse_index_base_b.has_recursion, 0
	.set _ZN9rocsparseL31bsrmm_large_blockdim_kernel_extILj4ELj16ELj2Eii21rocsparse_complex_numIdES2_S2_S2_EEvb20rocsparse_direction_T3_S4_llNS_24const_host_device_scalarIT7_EEPKT2_PKS4_PKT4_S4_PKT5_llS7_PT6_ll16rocsparse_order_21rocsparse_index_base_b.has_indirect_call, 0
	.section	.AMDGPU.csdata,"",@progbits
; Kernel info:
; codeLenInByte = 1900
; TotalNumSgprs: 42
; NumVgprs: 44
; NumAgprs: 0
; TotalNumVgprs: 44
; ScratchSize: 0
; MemoryBound: 0
; FloatMode: 240
; IeeeMode: 1
; LDSByteSize: 2304 bytes/workgroup (compile time only)
; SGPRBlocks: 5
; VGPRBlocks: 5
; NumSGPRsForWavesPerEU: 42
; NumVGPRsForWavesPerEU: 44
; AccumOffset: 44
; Occupancy: 8
; WaveLimiterHint : 0
; COMPUTE_PGM_RSRC2:SCRATCH_EN: 0
; COMPUTE_PGM_RSRC2:USER_SGPR: 2
; COMPUTE_PGM_RSRC2:TRAP_HANDLER: 0
; COMPUTE_PGM_RSRC2:TGID_X_EN: 1
; COMPUTE_PGM_RSRC2:TGID_Y_EN: 1
; COMPUTE_PGM_RSRC2:TGID_Z_EN: 0
; COMPUTE_PGM_RSRC2:TIDIG_COMP_CNT: 1
; COMPUTE_PGM_RSRC3_GFX90A:ACCUM_OFFSET: 10
; COMPUTE_PGM_RSRC3_GFX90A:TG_SPLIT: 0
	.section	.text._ZN9rocsparseL31bsrmm_large_blockdim_kernel_extILj16ELj16ELj2Eii21rocsparse_complex_numIdES2_S2_S2_EEvb20rocsparse_direction_T3_S4_llNS_24const_host_device_scalarIT7_EEPKT2_PKS4_PKT4_S4_PKT5_llS7_PT6_ll16rocsparse_order_21rocsparse_index_base_b,"axG",@progbits,_ZN9rocsparseL31bsrmm_large_blockdim_kernel_extILj16ELj16ELj2Eii21rocsparse_complex_numIdES2_S2_S2_EEvb20rocsparse_direction_T3_S4_llNS_24const_host_device_scalarIT7_EEPKT2_PKS4_PKT4_S4_PKT5_llS7_PT6_ll16rocsparse_order_21rocsparse_index_base_b,comdat
	.globl	_ZN9rocsparseL31bsrmm_large_blockdim_kernel_extILj16ELj16ELj2Eii21rocsparse_complex_numIdES2_S2_S2_EEvb20rocsparse_direction_T3_S4_llNS_24const_host_device_scalarIT7_EEPKT2_PKS4_PKT4_S4_PKT5_llS7_PT6_ll16rocsparse_order_21rocsparse_index_base_b ; -- Begin function _ZN9rocsparseL31bsrmm_large_blockdim_kernel_extILj16ELj16ELj2Eii21rocsparse_complex_numIdES2_S2_S2_EEvb20rocsparse_direction_T3_S4_llNS_24const_host_device_scalarIT7_EEPKT2_PKS4_PKT4_S4_PKT5_llS7_PT6_ll16rocsparse_order_21rocsparse_index_base_b
	.p2align	8
	.type	_ZN9rocsparseL31bsrmm_large_blockdim_kernel_extILj16ELj16ELj2Eii21rocsparse_complex_numIdES2_S2_S2_EEvb20rocsparse_direction_T3_S4_llNS_24const_host_device_scalarIT7_EEPKT2_PKS4_PKT4_S4_PKT5_llS7_PT6_ll16rocsparse_order_21rocsparse_index_base_b,@function
_ZN9rocsparseL31bsrmm_large_blockdim_kernel_extILj16ELj16ELj2Eii21rocsparse_complex_numIdES2_S2_S2_EEvb20rocsparse_direction_T3_S4_llNS_24const_host_device_scalarIT7_EEPKT2_PKS4_PKT4_S4_PKT5_llS7_PT6_ll16rocsparse_order_21rocsparse_index_base_b: ; @_ZN9rocsparseL31bsrmm_large_blockdim_kernel_extILj16ELj16ELj2Eii21rocsparse_complex_numIdES2_S2_S2_EEvb20rocsparse_direction_T3_S4_llNS_24const_host_device_scalarIT7_EEPKT2_PKS4_PKT4_S4_PKT5_llS7_PT6_ll16rocsparse_order_21rocsparse_index_base_b
; %bb.0:
	s_load_dwordx2 s[6:7], s[0:1], 0x20
	s_load_dwordx4 s[16:19], s[0:1], 0x90
	s_mov_b32 s4, s3
	s_add_u32 s3, s0, 32
	s_addc_u32 s5, s1, 0
	s_add_u32 s10, s0, 0x68
	s_load_dwordx2 s[8:9], s[0:1], 0x68
	s_addc_u32 s11, s1, 0
	s_waitcnt lgkmcnt(0)
	s_bitcmp1_b32 s18, 0
	s_cselect_b32 s5, s5, s7
	s_cselect_b32 s3, s3, s6
	v_mov_b32_e32 v2, s3
	v_mov_b32_e32 v3, s5
	flat_load_dwordx4 v[2:5], v[2:3]
	s_cselect_b32 s3, s11, s9
	s_cselect_b32 s5, s10, s8
	v_mov_b32_e32 v6, s5
	v_mov_b32_e32 v7, s3
	flat_load_dwordx4 v[6:9], v[6:7]
	s_waitcnt vmcnt(0) lgkmcnt(0)
	v_cmp_eq_f64_e32 vcc, 0, v[2:3]
	v_cmp_eq_f64_e64 s[6:7], 0, v[4:5]
	s_and_b64 s[10:11], vcc, s[6:7]
	s_mov_b64 s[6:7], -1
	s_and_saveexec_b64 s[8:9], s[10:11]
; %bb.1:
	v_cmp_neq_f64_e32 vcc, 1.0, v[6:7]
	v_cmp_neq_f64_e64 s[6:7], 0, v[8:9]
	s_or_b64 s[6:7], vcc, s[6:7]
	s_orn2_b64 s[6:7], s[6:7], exec
; %bb.2:
	s_or_b64 exec, exec, s[8:9]
	s_and_saveexec_b64 s[8:9], s[6:7]
	s_cbranch_execz .LBB38_48
; %bb.3:
	s_load_dwordx4 s[12:15], s[0:1], 0x0
	s_load_dwordx2 s[6:7], s[0:1], 0x30
	s_mov_b32 s33, 0
	s_mov_b32 s30, 0
	s_waitcnt lgkmcnt(0)
	s_cmp_lt_i32 s2, s14
	s_cselect_b64 s[18:19], -1, 0
	s_cmp_ge_i32 s2, s14
	s_cbranch_scc1 .LBB38_5
; %bb.4:
	s_ashr_i32 s3, s2, 31
	s_lshl_b64 s[8:9], s[2:3], 2
	s_add_u32 s8, s6, s8
	s_addc_u32 s9, s7, s9
	s_load_dword s3, s[8:9], 0x0
	s_waitcnt lgkmcnt(0)
	s_sub_i32 s30, s3, s17
.LBB38_5:
	s_andn2_b64 vcc, exec, s[18:19]
	s_cbranch_vccnz .LBB38_7
; %bb.6:
	s_ashr_i32 s3, s2, 31
	s_lshl_b64 s[8:9], s[2:3], 2
	s_add_u32 s6, s6, s8
	s_addc_u32 s7, s7, s9
	s_load_dword s3, s[6:7], 0x4
	s_waitcnt lgkmcnt(0)
	s_sub_i32 s33, s3, s17
.LBB38_7:
	s_load_dwordx2 s[28:29], s[0:1], 0x78
	s_load_dword s3, s[0:1], 0x48
	v_bfe_u32 v22, v0, 10, 10
	v_lshl_add_u32 v20, s4, 5, v22
	v_add_u32_e32 v14, 16, v20
	v_and_b32_e32 v10, 0x3ff, v0
	s_waitcnt lgkmcnt(0)
	v_cmp_gt_i32_e32 vcc, s3, v10
	v_mov_b64_e32 v[0:1], 0
	s_cmp_ge_i32 s30, s33
	v_cmp_gt_i32_e64 s[4:5], s15, v20
	v_cmp_gt_i32_e64 s[6:7], s15, v14
	v_mov_b64_e32 v[12:13], 0
	v_mov_b64_e32 v[16:17], 0
	;; [unrolled: 1-line block ×3, first 2 shown]
	s_cbranch_scc1 .LBB38_25
; %bb.8:
	s_load_dwordx4 s[20:23], s[0:1], 0x38
	s_load_dwordx4 s[24:27], s[0:1], 0x50
	v_lshlrev_b32_e32 v11, 8, v22
	v_cmp_gt_i32_e64 s[8:9], s3, v22
	v_mad_u64_u32 v[0:1], s[10:11], s3, v22, v[10:11]
	s_and_b64 s[34:35], vcc, s[8:9]
	v_mov_b32_e32 v1, 0x2000
	s_bitcmp1_b32 s12, 0
	v_lshl_add_u32 v31, v10, 8, v1
	v_mad_u64_u32 v[12:13], s[10:11], s3, v10, v[22:23]
	v_ashrrev_i32_e32 v21, 31, v20
	s_cselect_b64 s[8:9], -1, 0
	s_cmp_eq_u32 s13, 0
	v_lshl_add_u32 v32, v22, 4, v31
	s_waitcnt lgkmcnt(0)
	v_mul_lo_u32 v1, s27, v20
	v_mul_lo_u32 v13, s26, v21
	v_mad_u64_u32 v[22:23], s[10:11], s26, v20, 0
	v_ashrrev_i32_e32 v15, 31, v14
	v_mad_u64_u32 v[24:25], s[10:11], s26, v14, 0
	v_lshl_add_u32 v30, v10, 4, v11
	v_add3_u32 v23, v23, v13, v1
	v_mul_lo_u32 v1, s27, v14
	v_mul_lo_u32 v13, s26, v15
	s_cselect_b64 s[10:11], -1, 0
	s_mul_i32 s14, s3, s3
	v_add_u32_e32 v33, 0x1000, v30
	v_add3_u32 v25, v25, v13, v1
	v_cndmask_b32_e64 v34, v0, v12, s[10:11]
	v_add_u32_e32 v35, 0x1000, v11
	v_mov_b64_e32 v[18:19], 0
	v_mov_b64_e32 v[16:17], 0
	;; [unrolled: 1-line block ×4, first 2 shown]
	s_branch .LBB38_11
.LBB38_9:                               ;   in Loop: Header=BB38_11 Depth=1
	s_or_b64 exec, exec, s[12:13]
.LBB38_10:                              ;   in Loop: Header=BB38_11 Depth=1
	s_or_b64 exec, exec, s[10:11]
	s_add_i32 s30, s30, 1
	s_cmp_ge_i32 s30, s33
	s_barrier
	s_cbranch_scc1 .LBB38_25
.LBB38_11:                              ; =>This Loop Header: Depth=1
                                        ;     Child Loop BB38_21 Depth 2
                                        ;     Child Loop BB38_24 Depth 2
	s_and_saveexec_b64 s[10:11], vcc
	s_cbranch_execz .LBB38_16
; %bb.12:                               ;   in Loop: Header=BB38_11 Depth=1
	s_ashr_i32 s31, s30, 31
	s_lshl_b64 s[12:13], s[30:31], 2
	s_add_u32 s12, s20, s12
	s_addc_u32 s13, s21, s13
	s_load_dword s12, s[12:13], 0x0
	s_waitcnt lgkmcnt(0)
	s_sub_i32 s12, s12, s17
	s_mul_i32 s12, s12, s3
	v_add_u32_e32 v28, s12, v10
	v_ashrrev_i32_e32 v29, 31, v28
	v_mul_lo_u32 v36, s27, v28
	v_mad_u64_u32 v[26:27], s[12:13], s26, v28, 0
	v_mul_lo_u32 v37, s26, v29
	v_add3_u32 v27, v27, v37, v36
	v_lshl_add_u64 v[26:27], v[26:27], 4, s[24:25]
	v_lshl_add_u64 v[28:29], v[28:29], 4, s[24:25]
	s_and_saveexec_b64 s[12:13], s[4:5]
	s_cbranch_execz .LBB38_14
; %bb.13:                               ;   in Loop: Header=BB38_11 Depth=1
	v_lshl_add_u64 v[36:37], v[22:23], 4, v[28:29]
	v_lshl_add_u64 v[38:39], v[20:21], 4, v[26:27]
	v_cndmask_b32_e64 v37, v39, v37, s[8:9]
	v_cndmask_b32_e64 v36, v38, v36, s[8:9]
	global_load_dwordx4 v[36:39], v[36:37], off
	s_waitcnt vmcnt(0)
	ds_write2_b64 v30, v[36:37], v[38:39] offset1:1
.LBB38_14:                              ;   in Loop: Header=BB38_11 Depth=1
	s_or_b64 exec, exec, s[12:13]
	s_and_b64 exec, exec, s[6:7]
	s_cbranch_execz .LBB38_16
; %bb.15:                               ;   in Loop: Header=BB38_11 Depth=1
	v_lshl_add_u64 v[28:29], v[24:25], 4, v[28:29]
	v_lshl_add_u64 v[26:27], v[14:15], 4, v[26:27]
	v_cndmask_b32_e64 v27, v27, v29, s[8:9]
	v_cndmask_b32_e64 v26, v26, v28, s[8:9]
	global_load_dwordx4 v[26:29], v[26:27], off
	s_waitcnt vmcnt(0)
	ds_write2_b64 v33, v[26:27], v[28:29] offset1:1
.LBB38_16:                              ;   in Loop: Header=BB38_11 Depth=1
	s_or_b64 exec, exec, s[10:11]
	s_and_saveexec_b64 s[10:11], s[34:35]
	s_cbranch_execz .LBB38_18
; %bb.17:                               ;   in Loop: Header=BB38_11 Depth=1
	s_mul_i32 s12, s14, s30
	v_add_u32_e32 v26, s12, v34
	v_ashrrev_i32_e32 v27, 31, v26
	v_lshl_add_u64 v[26:27], v[26:27], 4, s[22:23]
	global_load_dwordx4 v[26:29], v[26:27], off
	s_waitcnt vmcnt(0)
	ds_write2_b64 v32, v[26:27], v[28:29] offset1:1
.LBB38_18:                              ;   in Loop: Header=BB38_11 Depth=1
	s_or_b64 exec, exec, s[10:11]
	s_waitcnt lgkmcnt(0)
	s_barrier
	s_and_saveexec_b64 s[10:11], vcc
	s_cbranch_execz .LBB38_10
; %bb.19:                               ;   in Loop: Header=BB38_11 Depth=1
	s_and_saveexec_b64 s[12:13], s[4:5]
	s_cbranch_execz .LBB38_22
; %bb.20:                               ;   in Loop: Header=BB38_11 Depth=1
	v_mov_b32_e32 v26, v31
	v_mov_b32_e32 v27, v11
	s_mov_b32 s31, s3
.LBB38_21:                              ;   Parent Loop BB38_11 Depth=1
                                        ; =>  This Inner Loop Header: Depth=2
	ds_read_b128 v[36:39], v26
	ds_read_b128 v[40:43], v27
	s_add_i32 s31, s31, -1
	v_add_u32_e32 v27, 16, v27
	v_add_u32_e32 v26, 16, v26
	s_cmp_lg_u32 s31, 0
	s_waitcnt lgkmcnt(0)
	v_fmac_f64_e32 v[0:1], v[36:37], v[40:41]
	v_fmac_f64_e32 v[12:13], v[38:39], v[40:41]
	v_fma_f64 v[0:1], -v[38:39], v[42:43], v[0:1]
	v_fmac_f64_e32 v[12:13], v[36:37], v[42:43]
	s_cbranch_scc1 .LBB38_21
.LBB38_22:                              ;   in Loop: Header=BB38_11 Depth=1
	s_or_b64 exec, exec, s[12:13]
	s_and_saveexec_b64 s[12:13], s[6:7]
	s_cbranch_execz .LBB38_9
; %bb.23:                               ;   in Loop: Header=BB38_11 Depth=1
	v_mov_b32_e32 v26, v31
	s_mov_b32 s31, s3
	v_mov_b32_e32 v27, v35
.LBB38_24:                              ;   Parent Loop BB38_11 Depth=1
                                        ; =>  This Inner Loop Header: Depth=2
	ds_read_b128 v[36:39], v26
	ds_read_b128 v[40:43], v27
	s_add_i32 s31, s31, -1
	v_add_u32_e32 v27, 16, v27
	v_add_u32_e32 v26, 16, v26
	s_cmp_lg_u32 s31, 0
	s_waitcnt lgkmcnt(0)
	v_fmac_f64_e32 v[16:17], v[36:37], v[40:41]
	v_fmac_f64_e32 v[18:19], v[38:39], v[40:41]
	v_fma_f64 v[16:17], -v[38:39], v[42:43], v[16:17]
	v_fmac_f64_e32 v[18:19], v[36:37], v[42:43]
	s_cbranch_scc1 .LBB38_24
	s_branch .LBB38_9
.LBB38_25:
	s_and_b64 s[4:5], s[18:19], vcc
	s_and_b64 exec, exec, s[4:5]
	s_cbranch_execz .LBB38_48
; %bb.26:
	s_mul_i32 s2, s3, s2
	v_add_u32_e32 v10, s2, v10
	s_load_dwordx2 s[2:3], s[0:1], 0x80
	v_cmp_neq_f64_e32 vcc, 0, v[6:7]
	v_cmp_neq_f64_e64 s[0:1], 0, v[8:9]
	v_ashrrev_i32_e32 v11, 31, v10
	s_or_b64 s[4:5], vcc, s[0:1]
	s_waitcnt lgkmcnt(0)
	v_mul_lo_u32 v15, s2, v11
	v_mul_lo_u32 v21, s3, v10
	v_mad_u64_u32 v[22:23], s[6:7], s2, v10, 0
	s_cmp_lg_u32 s16, 1
	v_add3_u32 v23, v23, v15, v21
	s_cselect_b64 s[0:1], -1, 0
	v_lshl_add_u64 v[24:25], v[22:23], 4, s[28:29]
	v_lshl_add_u64 v[22:23], v[10:11], 4, s[28:29]
	v_cmp_gt_i32_e32 vcc, s15, v20
	s_and_saveexec_b64 s[6:7], vcc
	s_cbranch_execz .LBB38_37
; %bb.27:
	v_ashrrev_i32_e32 v21, 31, v20
	s_and_saveexec_b64 s[8:9], s[4:5]
	s_xor_b64 s[8:9], exec, s[8:9]
	s_cbranch_execz .LBB38_32
; %bb.28:
	s_mov_b64 s[10:11], -1
	s_and_b64 vcc, exec, s[0:1]
	s_cbranch_vccz .LBB38_30
; %bb.29:
	v_lshl_add_u64 v[10:11], v[20:21], 4, v[24:25]
	global_load_dwordx4 v[26:29], v[10:11], off
	v_mul_f64 v[30:31], v[12:13], -v[4:5]
	v_mul_f64 v[32:33], v[2:3], v[12:13]
	v_fmac_f64_e32 v[30:31], v[2:3], v[0:1]
	v_fmac_f64_e32 v[32:33], v[4:5], v[0:1]
	s_mov_b64 s[10:11], 0
	s_waitcnt vmcnt(0)
	v_fmac_f64_e32 v[30:31], v[6:7], v[26:27]
	v_fmac_f64_e32 v[32:33], v[8:9], v[26:27]
	v_fma_f64 v[30:31], -v[8:9], v[28:29], v[30:31]
	v_fmac_f64_e32 v[32:33], v[6:7], v[28:29]
	global_store_dwordx4 v[10:11], v[30:33], off
.LBB38_30:
	s_andn2_b64 vcc, exec, s[10:11]
	s_cbranch_vccnz .LBB38_32
; %bb.31:
	v_mul_lo_u32 v15, s3, v20
	v_mul_lo_u32 v21, s2, v21
	v_mad_u64_u32 v[10:11], s[10:11], s2, v20, 0
	v_add3_u32 v11, v11, v21, v15
	v_lshl_add_u64 v[20:21], v[10:11], 4, v[22:23]
	global_load_dwordx4 v[26:29], v[20:21], off
	v_mul_f64 v[10:11], v[12:13], -v[4:5]
	v_mul_f64 v[12:13], v[2:3], v[12:13]
	v_fmac_f64_e32 v[10:11], v[2:3], v[0:1]
	v_fmac_f64_e32 v[12:13], v[4:5], v[0:1]
                                        ; implicit-def: $vgpr0_vgpr1
	s_waitcnt vmcnt(0)
	v_fmac_f64_e32 v[10:11], v[6:7], v[26:27]
	v_fmac_f64_e32 v[12:13], v[8:9], v[26:27]
	v_fma_f64 v[10:11], -v[8:9], v[28:29], v[10:11]
	v_fmac_f64_e32 v[12:13], v[6:7], v[28:29]
	global_store_dwordx4 v[20:21], v[10:13], off
                                        ; implicit-def: $vgpr12_vgpr13
                                        ; implicit-def: $vgpr20
.LBB38_32:
	s_andn2_saveexec_b64 s[8:9], s[8:9]
	s_cbranch_execz .LBB38_37
; %bb.33:
	v_mul_f64 v[10:11], v[12:13], -v[4:5]
	v_mul_f64 v[12:13], v[2:3], v[12:13]
	v_fmac_f64_e32 v[10:11], v[2:3], v[0:1]
	v_fmac_f64_e32 v[12:13], v[4:5], v[0:1]
	s_mov_b64 s[8:9], -1
	s_and_b64 vcc, exec, s[0:1]
	s_cbranch_vccz .LBB38_35
; %bb.34:
	v_lshl_add_u64 v[0:1], v[20:21], 4, v[24:25]
	global_store_dwordx4 v[0:1], v[10:13], off
	s_mov_b64 s[8:9], 0
.LBB38_35:
	s_andn2_b64 vcc, exec, s[8:9]
	s_cbranch_vccnz .LBB38_37
; %bb.36:
	v_mul_lo_u32 v15, s3, v20
	v_mul_lo_u32 v21, s2, v21
	v_mad_u64_u32 v[0:1], s[8:9], s2, v20, 0
	v_add3_u32 v1, v1, v21, v15
	v_lshl_add_u64 v[0:1], v[0:1], 4, v[22:23]
	global_store_dwordx4 v[0:1], v[10:13], off
.LBB38_37:
	s_or_b64 exec, exec, s[6:7]
	v_cmp_gt_i32_e32 vcc, s15, v14
	s_and_b64 exec, exec, vcc
	s_cbranch_execz .LBB38_48
; %bb.38:
	v_cndmask_b32_e64 v0, 0, 1, s[0:1]
	v_ashrrev_i32_e32 v15, 31, v14
	v_cmp_ne_u32_e64 s[0:1], 1, v0
	s_and_saveexec_b64 s[6:7], s[4:5]
	s_xor_b64 s[4:5], exec, s[6:7]
	s_cbranch_execz .LBB38_43
; %bb.39:
	s_and_b64 vcc, exec, s[0:1]
	s_mov_b64 s[6:7], -1
	s_cbranch_vccnz .LBB38_41
; %bb.40:
	v_lshl_add_u64 v[0:1], v[14:15], 4, v[24:25]
	global_load_dwordx4 v[10:13], v[0:1], off
	v_mul_f64 v[20:21], v[18:19], -v[4:5]
	v_mul_f64 v[26:27], v[2:3], v[18:19]
	v_fmac_f64_e32 v[20:21], v[2:3], v[16:17]
	v_fmac_f64_e32 v[26:27], v[4:5], v[16:17]
	s_mov_b64 s[6:7], 0
	s_waitcnt vmcnt(0)
	v_fmac_f64_e32 v[20:21], v[6:7], v[10:11]
	v_fmac_f64_e32 v[26:27], v[8:9], v[10:11]
	v_fma_f64 v[24:25], -v[8:9], v[12:13], v[20:21]
	v_fmac_f64_e32 v[26:27], v[6:7], v[12:13]
	global_store_dwordx4 v[0:1], v[24:27], off
.LBB38_41:
	s_andn2_b64 vcc, exec, s[6:7]
                                        ; implicit-def: $vgpr24_vgpr25
	s_cbranch_vccnz .LBB38_43
; %bb.42:
	v_mul_lo_u32 v10, s3, v14
	v_mul_lo_u32 v11, s2, v15
	v_mad_u64_u32 v[0:1], s[6:7], s2, v14, 0
	v_add3_u32 v1, v1, v11, v10
	v_lshl_add_u64 v[0:1], v[0:1], 4, v[22:23]
	global_load_dwordx4 v[10:13], v[0:1], off
	v_mul_f64 v[14:15], v[18:19], -v[4:5]
	v_mul_f64 v[18:19], v[2:3], v[18:19]
	v_fmac_f64_e32 v[14:15], v[2:3], v[16:17]
	v_fmac_f64_e32 v[18:19], v[4:5], v[16:17]
                                        ; implicit-def: $vgpr22_vgpr23
                                        ; implicit-def: $vgpr4_vgpr5
                                        ; implicit-def: $vgpr24_vgpr25
	s_waitcnt vmcnt(0)
	v_fmac_f64_e32 v[14:15], v[6:7], v[10:11]
	v_fmac_f64_e32 v[18:19], v[8:9], v[10:11]
	v_fma_f64 v[16:17], -v[8:9], v[12:13], v[14:15]
	v_fmac_f64_e32 v[18:19], v[6:7], v[12:13]
	global_store_dwordx4 v[0:1], v[16:19], off
                                        ; implicit-def: $vgpr18_vgpr19
                                        ; implicit-def: $vgpr16_vgpr17
                                        ; implicit-def: $vgpr14
.LBB38_43:
	s_andn2_saveexec_b64 s[4:5], s[4:5]
	s_cbranch_execz .LBB38_48
; %bb.44:
	v_mul_f64 v[0:1], v[18:19], -v[4:5]
	v_fmac_f64_e32 v[0:1], v[2:3], v[16:17]
	v_mul_f64 v[2:3], v[2:3], v[18:19]
	v_fmac_f64_e32 v[2:3], v[4:5], v[16:17]
	s_and_b64 vcc, exec, s[0:1]
	s_mov_b64 s[0:1], -1
	s_cbranch_vccnz .LBB38_46
; %bb.45:
	v_lshl_add_u64 v[4:5], v[14:15], 4, v[24:25]
	s_mov_b64 s[0:1], 0
	global_store_dwordx4 v[4:5], v[0:3], off
.LBB38_46:
	s_andn2_b64 vcc, exec, s[0:1]
	s_cbranch_vccnz .LBB38_48
; %bb.47:
	v_mul_lo_u32 v6, s3, v14
	v_mul_lo_u32 v7, s2, v15
	v_mad_u64_u32 v[4:5], s[0:1], s2, v14, 0
	v_add3_u32 v5, v5, v7, v6
	v_lshl_add_u64 v[4:5], v[4:5], 4, v[22:23]
	global_store_dwordx4 v[4:5], v[0:3], off
.LBB38_48:
	s_endpgm
	.section	.rodata,"a",@progbits
	.p2align	6, 0x0
	.amdhsa_kernel _ZN9rocsparseL31bsrmm_large_blockdim_kernel_extILj16ELj16ELj2Eii21rocsparse_complex_numIdES2_S2_S2_EEvb20rocsparse_direction_T3_S4_llNS_24const_host_device_scalarIT7_EEPKT2_PKS4_PKT4_S4_PKT5_llS7_PT6_ll16rocsparse_order_21rocsparse_index_base_b
		.amdhsa_group_segment_fixed_size 12288
		.amdhsa_private_segment_fixed_size 0
		.amdhsa_kernarg_size 156
		.amdhsa_user_sgpr_count 2
		.amdhsa_user_sgpr_dispatch_ptr 0
		.amdhsa_user_sgpr_queue_ptr 0
		.amdhsa_user_sgpr_kernarg_segment_ptr 1
		.amdhsa_user_sgpr_dispatch_id 0
		.amdhsa_user_sgpr_kernarg_preload_length 0
		.amdhsa_user_sgpr_kernarg_preload_offset 0
		.amdhsa_user_sgpr_private_segment_size 0
		.amdhsa_uses_dynamic_stack 0
		.amdhsa_enable_private_segment 0
		.amdhsa_system_sgpr_workgroup_id_x 1
		.amdhsa_system_sgpr_workgroup_id_y 1
		.amdhsa_system_sgpr_workgroup_id_z 0
		.amdhsa_system_sgpr_workgroup_info 0
		.amdhsa_system_vgpr_workitem_id 1
		.amdhsa_next_free_vgpr 44
		.amdhsa_next_free_sgpr 36
		.amdhsa_accum_offset 44
		.amdhsa_reserve_vcc 1
		.amdhsa_float_round_mode_32 0
		.amdhsa_float_round_mode_16_64 0
		.amdhsa_float_denorm_mode_32 3
		.amdhsa_float_denorm_mode_16_64 3
		.amdhsa_dx10_clamp 1
		.amdhsa_ieee_mode 1
		.amdhsa_fp16_overflow 0
		.amdhsa_tg_split 0
		.amdhsa_exception_fp_ieee_invalid_op 0
		.amdhsa_exception_fp_denorm_src 0
		.amdhsa_exception_fp_ieee_div_zero 0
		.amdhsa_exception_fp_ieee_overflow 0
		.amdhsa_exception_fp_ieee_underflow 0
		.amdhsa_exception_fp_ieee_inexact 0
		.amdhsa_exception_int_div_zero 0
	.end_amdhsa_kernel
	.section	.text._ZN9rocsparseL31bsrmm_large_blockdim_kernel_extILj16ELj16ELj2Eii21rocsparse_complex_numIdES2_S2_S2_EEvb20rocsparse_direction_T3_S4_llNS_24const_host_device_scalarIT7_EEPKT2_PKS4_PKT4_S4_PKT5_llS7_PT6_ll16rocsparse_order_21rocsparse_index_base_b,"axG",@progbits,_ZN9rocsparseL31bsrmm_large_blockdim_kernel_extILj16ELj16ELj2Eii21rocsparse_complex_numIdES2_S2_S2_EEvb20rocsparse_direction_T3_S4_llNS_24const_host_device_scalarIT7_EEPKT2_PKS4_PKT4_S4_PKT5_llS7_PT6_ll16rocsparse_order_21rocsparse_index_base_b,comdat
.Lfunc_end38:
	.size	_ZN9rocsparseL31bsrmm_large_blockdim_kernel_extILj16ELj16ELj2Eii21rocsparse_complex_numIdES2_S2_S2_EEvb20rocsparse_direction_T3_S4_llNS_24const_host_device_scalarIT7_EEPKT2_PKS4_PKT4_S4_PKT5_llS7_PT6_ll16rocsparse_order_21rocsparse_index_base_b, .Lfunc_end38-_ZN9rocsparseL31bsrmm_large_blockdim_kernel_extILj16ELj16ELj2Eii21rocsparse_complex_numIdES2_S2_S2_EEvb20rocsparse_direction_T3_S4_llNS_24const_host_device_scalarIT7_EEPKT2_PKS4_PKT4_S4_PKT5_llS7_PT6_ll16rocsparse_order_21rocsparse_index_base_b
                                        ; -- End function
	.set _ZN9rocsparseL31bsrmm_large_blockdim_kernel_extILj16ELj16ELj2Eii21rocsparse_complex_numIdES2_S2_S2_EEvb20rocsparse_direction_T3_S4_llNS_24const_host_device_scalarIT7_EEPKT2_PKS4_PKT4_S4_PKT5_llS7_PT6_ll16rocsparse_order_21rocsparse_index_base_b.num_vgpr, 44
	.set _ZN9rocsparseL31bsrmm_large_blockdim_kernel_extILj16ELj16ELj2Eii21rocsparse_complex_numIdES2_S2_S2_EEvb20rocsparse_direction_T3_S4_llNS_24const_host_device_scalarIT7_EEPKT2_PKS4_PKT4_S4_PKT5_llS7_PT6_ll16rocsparse_order_21rocsparse_index_base_b.num_agpr, 0
	.set _ZN9rocsparseL31bsrmm_large_blockdim_kernel_extILj16ELj16ELj2Eii21rocsparse_complex_numIdES2_S2_S2_EEvb20rocsparse_direction_T3_S4_llNS_24const_host_device_scalarIT7_EEPKT2_PKS4_PKT4_S4_PKT5_llS7_PT6_ll16rocsparse_order_21rocsparse_index_base_b.numbered_sgpr, 36
	.set _ZN9rocsparseL31bsrmm_large_blockdim_kernel_extILj16ELj16ELj2Eii21rocsparse_complex_numIdES2_S2_S2_EEvb20rocsparse_direction_T3_S4_llNS_24const_host_device_scalarIT7_EEPKT2_PKS4_PKT4_S4_PKT5_llS7_PT6_ll16rocsparse_order_21rocsparse_index_base_b.num_named_barrier, 0
	.set _ZN9rocsparseL31bsrmm_large_blockdim_kernel_extILj16ELj16ELj2Eii21rocsparse_complex_numIdES2_S2_S2_EEvb20rocsparse_direction_T3_S4_llNS_24const_host_device_scalarIT7_EEPKT2_PKS4_PKT4_S4_PKT5_llS7_PT6_ll16rocsparse_order_21rocsparse_index_base_b.private_seg_size, 0
	.set _ZN9rocsparseL31bsrmm_large_blockdim_kernel_extILj16ELj16ELj2Eii21rocsparse_complex_numIdES2_S2_S2_EEvb20rocsparse_direction_T3_S4_llNS_24const_host_device_scalarIT7_EEPKT2_PKS4_PKT4_S4_PKT5_llS7_PT6_ll16rocsparse_order_21rocsparse_index_base_b.uses_vcc, 1
	.set _ZN9rocsparseL31bsrmm_large_blockdim_kernel_extILj16ELj16ELj2Eii21rocsparse_complex_numIdES2_S2_S2_EEvb20rocsparse_direction_T3_S4_llNS_24const_host_device_scalarIT7_EEPKT2_PKS4_PKT4_S4_PKT5_llS7_PT6_ll16rocsparse_order_21rocsparse_index_base_b.uses_flat_scratch, 0
	.set _ZN9rocsparseL31bsrmm_large_blockdim_kernel_extILj16ELj16ELj2Eii21rocsparse_complex_numIdES2_S2_S2_EEvb20rocsparse_direction_T3_S4_llNS_24const_host_device_scalarIT7_EEPKT2_PKS4_PKT4_S4_PKT5_llS7_PT6_ll16rocsparse_order_21rocsparse_index_base_b.has_dyn_sized_stack, 0
	.set _ZN9rocsparseL31bsrmm_large_blockdim_kernel_extILj16ELj16ELj2Eii21rocsparse_complex_numIdES2_S2_S2_EEvb20rocsparse_direction_T3_S4_llNS_24const_host_device_scalarIT7_EEPKT2_PKS4_PKT4_S4_PKT5_llS7_PT6_ll16rocsparse_order_21rocsparse_index_base_b.has_recursion, 0
	.set _ZN9rocsparseL31bsrmm_large_blockdim_kernel_extILj16ELj16ELj2Eii21rocsparse_complex_numIdES2_S2_S2_EEvb20rocsparse_direction_T3_S4_llNS_24const_host_device_scalarIT7_EEPKT2_PKS4_PKT4_S4_PKT5_llS7_PT6_ll16rocsparse_order_21rocsparse_index_base_b.has_indirect_call, 0
	.section	.AMDGPU.csdata,"",@progbits
; Kernel info:
; codeLenInByte = 1908
; TotalNumSgprs: 42
; NumVgprs: 44
; NumAgprs: 0
; TotalNumVgprs: 44
; ScratchSize: 0
; MemoryBound: 0
; FloatMode: 240
; IeeeMode: 1
; LDSByteSize: 12288 bytes/workgroup (compile time only)
; SGPRBlocks: 5
; VGPRBlocks: 5
; NumSGPRsForWavesPerEU: 42
; NumVGPRsForWavesPerEU: 44
; AccumOffset: 44
; Occupancy: 8
; WaveLimiterHint : 0
; COMPUTE_PGM_RSRC2:SCRATCH_EN: 0
; COMPUTE_PGM_RSRC2:USER_SGPR: 2
; COMPUTE_PGM_RSRC2:TRAP_HANDLER: 0
; COMPUTE_PGM_RSRC2:TGID_X_EN: 1
; COMPUTE_PGM_RSRC2:TGID_Y_EN: 1
; COMPUTE_PGM_RSRC2:TGID_Z_EN: 0
; COMPUTE_PGM_RSRC2:TIDIG_COMP_CNT: 1
; COMPUTE_PGM_RSRC3_GFX90A:ACCUM_OFFSET: 10
; COMPUTE_PGM_RSRC3_GFX90A:TG_SPLIT: 0
	.section	.text._ZN9rocsparseL31bsrmm_large_blockdim_kernel_extILj32ELj32ELj2Eii21rocsparse_complex_numIdES2_S2_S2_EEvb20rocsparse_direction_T3_S4_llNS_24const_host_device_scalarIT7_EEPKT2_PKS4_PKT4_S4_PKT5_llS7_PT6_ll16rocsparse_order_21rocsparse_index_base_b,"axG",@progbits,_ZN9rocsparseL31bsrmm_large_blockdim_kernel_extILj32ELj32ELj2Eii21rocsparse_complex_numIdES2_S2_S2_EEvb20rocsparse_direction_T3_S4_llNS_24const_host_device_scalarIT7_EEPKT2_PKS4_PKT4_S4_PKT5_llS7_PT6_ll16rocsparse_order_21rocsparse_index_base_b,comdat
	.globl	_ZN9rocsparseL31bsrmm_large_blockdim_kernel_extILj32ELj32ELj2Eii21rocsparse_complex_numIdES2_S2_S2_EEvb20rocsparse_direction_T3_S4_llNS_24const_host_device_scalarIT7_EEPKT2_PKS4_PKT4_S4_PKT5_llS7_PT6_ll16rocsparse_order_21rocsparse_index_base_b ; -- Begin function _ZN9rocsparseL31bsrmm_large_blockdim_kernel_extILj32ELj32ELj2Eii21rocsparse_complex_numIdES2_S2_S2_EEvb20rocsparse_direction_T3_S4_llNS_24const_host_device_scalarIT7_EEPKT2_PKS4_PKT4_S4_PKT5_llS7_PT6_ll16rocsparse_order_21rocsparse_index_base_b
	.p2align	8
	.type	_ZN9rocsparseL31bsrmm_large_blockdim_kernel_extILj32ELj32ELj2Eii21rocsparse_complex_numIdES2_S2_S2_EEvb20rocsparse_direction_T3_S4_llNS_24const_host_device_scalarIT7_EEPKT2_PKS4_PKT4_S4_PKT5_llS7_PT6_ll16rocsparse_order_21rocsparse_index_base_b,@function
_ZN9rocsparseL31bsrmm_large_blockdim_kernel_extILj32ELj32ELj2Eii21rocsparse_complex_numIdES2_S2_S2_EEvb20rocsparse_direction_T3_S4_llNS_24const_host_device_scalarIT7_EEPKT2_PKS4_PKT4_S4_PKT5_llS7_PT6_ll16rocsparse_order_21rocsparse_index_base_b: ; @_ZN9rocsparseL31bsrmm_large_blockdim_kernel_extILj32ELj32ELj2Eii21rocsparse_complex_numIdES2_S2_S2_EEvb20rocsparse_direction_T3_S4_llNS_24const_host_device_scalarIT7_EEPKT2_PKS4_PKT4_S4_PKT5_llS7_PT6_ll16rocsparse_order_21rocsparse_index_base_b
; %bb.0:
	s_load_dwordx2 s[6:7], s[0:1], 0x20
	s_load_dwordx4 s[16:19], s[0:1], 0x90
	s_mov_b32 s4, s3
	s_add_u32 s3, s0, 32
	s_addc_u32 s5, s1, 0
	s_add_u32 s10, s0, 0x68
	s_load_dwordx2 s[8:9], s[0:1], 0x68
	s_addc_u32 s11, s1, 0
	s_waitcnt lgkmcnt(0)
	s_bitcmp1_b32 s18, 0
	s_cselect_b32 s5, s5, s7
	s_cselect_b32 s3, s3, s6
	v_mov_b32_e32 v2, s3
	v_mov_b32_e32 v3, s5
	flat_load_dwordx4 v[2:5], v[2:3]
	s_cselect_b32 s3, s11, s9
	s_cselect_b32 s5, s10, s8
	v_mov_b32_e32 v6, s5
	v_mov_b32_e32 v7, s3
	flat_load_dwordx4 v[6:9], v[6:7]
	s_waitcnt vmcnt(0) lgkmcnt(0)
	v_cmp_eq_f64_e32 vcc, 0, v[2:3]
	v_cmp_eq_f64_e64 s[6:7], 0, v[4:5]
	s_and_b64 s[10:11], vcc, s[6:7]
	s_mov_b64 s[6:7], -1
	s_and_saveexec_b64 s[8:9], s[10:11]
; %bb.1:
	v_cmp_neq_f64_e32 vcc, 1.0, v[6:7]
	v_cmp_neq_f64_e64 s[6:7], 0, v[8:9]
	s_or_b64 s[6:7], vcc, s[6:7]
	s_orn2_b64 s[6:7], s[6:7], exec
; %bb.2:
	s_or_b64 exec, exec, s[8:9]
	s_and_saveexec_b64 s[8:9], s[6:7]
	s_cbranch_execz .LBB39_48
; %bb.3:
	s_load_dwordx4 s[12:15], s[0:1], 0x0
	s_load_dwordx2 s[6:7], s[0:1], 0x30
	s_mov_b32 s33, 0
	s_mov_b32 s30, 0
	s_waitcnt lgkmcnt(0)
	s_cmp_lt_i32 s2, s14
	s_cselect_b64 s[18:19], -1, 0
	s_cmp_ge_i32 s2, s14
	s_cbranch_scc1 .LBB39_5
; %bb.4:
	s_ashr_i32 s3, s2, 31
	s_lshl_b64 s[8:9], s[2:3], 2
	s_add_u32 s8, s6, s8
	s_addc_u32 s9, s7, s9
	s_load_dword s3, s[8:9], 0x0
	s_waitcnt lgkmcnt(0)
	s_sub_i32 s30, s3, s17
.LBB39_5:
	s_andn2_b64 vcc, exec, s[18:19]
	s_cbranch_vccnz .LBB39_7
; %bb.6:
	s_ashr_i32 s3, s2, 31
	s_lshl_b64 s[8:9], s[2:3], 2
	s_add_u32 s6, s6, s8
	s_addc_u32 s7, s7, s9
	s_load_dword s3, s[6:7], 0x4
	s_waitcnt lgkmcnt(0)
	s_sub_i32 s33, s3, s17
.LBB39_7:
	s_load_dwordx2 s[28:29], s[0:1], 0x78
	s_load_dword s3, s[0:1], 0x48
	v_bfe_u32 v22, v0, 10, 10
	v_lshl_add_u32 v20, s4, 6, v22
	v_add_u32_e32 v14, 32, v20
	v_and_b32_e32 v10, 0x3ff, v0
	s_waitcnt lgkmcnt(0)
	v_cmp_gt_i32_e32 vcc, s3, v10
	v_mov_b64_e32 v[0:1], 0
	s_cmp_ge_i32 s30, s33
	v_cmp_gt_i32_e64 s[4:5], s15, v20
	v_cmp_gt_i32_e64 s[6:7], s15, v14
	v_mov_b64_e32 v[12:13], 0
	v_mov_b64_e32 v[16:17], 0
	;; [unrolled: 1-line block ×3, first 2 shown]
	s_cbranch_scc1 .LBB39_25
; %bb.8:
	s_load_dwordx4 s[20:23], s[0:1], 0x38
	s_load_dwordx4 s[24:27], s[0:1], 0x50
	v_lshlrev_b32_e32 v11, 9, v22
	v_cmp_gt_i32_e64 s[8:9], s3, v22
	v_mad_u64_u32 v[0:1], s[10:11], s3, v22, v[10:11]
	s_and_b64 s[34:35], vcc, s[8:9]
	v_mov_b32_e32 v1, 0x8000
	s_bitcmp1_b32 s12, 0
	v_lshl_add_u32 v31, v10, 9, v1
	v_mad_u64_u32 v[12:13], s[10:11], s3, v10, v[22:23]
	v_ashrrev_i32_e32 v21, 31, v20
	s_cselect_b64 s[8:9], -1, 0
	s_cmp_eq_u32 s13, 0
	v_lshl_add_u32 v32, v22, 4, v31
	s_waitcnt lgkmcnt(0)
	v_mul_lo_u32 v1, s27, v20
	v_mul_lo_u32 v13, s26, v21
	v_mad_u64_u32 v[22:23], s[10:11], s26, v20, 0
	v_ashrrev_i32_e32 v15, 31, v14
	v_mad_u64_u32 v[24:25], s[10:11], s26, v14, 0
	v_lshl_add_u32 v30, v10, 4, v11
	v_add3_u32 v23, v23, v13, v1
	v_mul_lo_u32 v1, s27, v14
	v_mul_lo_u32 v13, s26, v15
	s_cselect_b64 s[10:11], -1, 0
	s_mul_i32 s14, s3, s3
	v_add_u32_e32 v33, 0x4000, v30
	v_add3_u32 v25, v25, v13, v1
	v_cndmask_b32_e64 v34, v0, v12, s[10:11]
	v_add_u32_e32 v35, 0x4000, v11
	v_mov_b64_e32 v[18:19], 0
	v_mov_b64_e32 v[16:17], 0
	;; [unrolled: 1-line block ×4, first 2 shown]
	s_branch .LBB39_11
.LBB39_9:                               ;   in Loop: Header=BB39_11 Depth=1
	s_or_b64 exec, exec, s[12:13]
.LBB39_10:                              ;   in Loop: Header=BB39_11 Depth=1
	s_or_b64 exec, exec, s[10:11]
	s_add_i32 s30, s30, 1
	s_cmp_ge_i32 s30, s33
	s_barrier
	s_cbranch_scc1 .LBB39_25
.LBB39_11:                              ; =>This Loop Header: Depth=1
                                        ;     Child Loop BB39_21 Depth 2
                                        ;     Child Loop BB39_24 Depth 2
	s_and_saveexec_b64 s[10:11], vcc
	s_cbranch_execz .LBB39_16
; %bb.12:                               ;   in Loop: Header=BB39_11 Depth=1
	s_ashr_i32 s31, s30, 31
	s_lshl_b64 s[12:13], s[30:31], 2
	s_add_u32 s12, s20, s12
	s_addc_u32 s13, s21, s13
	s_load_dword s12, s[12:13], 0x0
	s_waitcnt lgkmcnt(0)
	s_sub_i32 s12, s12, s17
	s_mul_i32 s12, s12, s3
	v_add_u32_e32 v28, s12, v10
	v_ashrrev_i32_e32 v29, 31, v28
	v_mul_lo_u32 v36, s27, v28
	v_mad_u64_u32 v[26:27], s[12:13], s26, v28, 0
	v_mul_lo_u32 v37, s26, v29
	v_add3_u32 v27, v27, v37, v36
	v_lshl_add_u64 v[26:27], v[26:27], 4, s[24:25]
	v_lshl_add_u64 v[28:29], v[28:29], 4, s[24:25]
	s_and_saveexec_b64 s[12:13], s[4:5]
	s_cbranch_execz .LBB39_14
; %bb.13:                               ;   in Loop: Header=BB39_11 Depth=1
	v_lshl_add_u64 v[36:37], v[22:23], 4, v[28:29]
	v_lshl_add_u64 v[38:39], v[20:21], 4, v[26:27]
	v_cndmask_b32_e64 v37, v39, v37, s[8:9]
	v_cndmask_b32_e64 v36, v38, v36, s[8:9]
	global_load_dwordx4 v[36:39], v[36:37], off
	s_waitcnt vmcnt(0)
	ds_write2_b64 v30, v[36:37], v[38:39] offset1:1
.LBB39_14:                              ;   in Loop: Header=BB39_11 Depth=1
	s_or_b64 exec, exec, s[12:13]
	s_and_b64 exec, exec, s[6:7]
	s_cbranch_execz .LBB39_16
; %bb.15:                               ;   in Loop: Header=BB39_11 Depth=1
	v_lshl_add_u64 v[28:29], v[24:25], 4, v[28:29]
	v_lshl_add_u64 v[26:27], v[14:15], 4, v[26:27]
	v_cndmask_b32_e64 v27, v27, v29, s[8:9]
	v_cndmask_b32_e64 v26, v26, v28, s[8:9]
	global_load_dwordx4 v[26:29], v[26:27], off
	s_waitcnt vmcnt(0)
	ds_write2_b64 v33, v[26:27], v[28:29] offset1:1
.LBB39_16:                              ;   in Loop: Header=BB39_11 Depth=1
	s_or_b64 exec, exec, s[10:11]
	s_and_saveexec_b64 s[10:11], s[34:35]
	s_cbranch_execz .LBB39_18
; %bb.17:                               ;   in Loop: Header=BB39_11 Depth=1
	s_mul_i32 s12, s14, s30
	v_add_u32_e32 v26, s12, v34
	v_ashrrev_i32_e32 v27, 31, v26
	v_lshl_add_u64 v[26:27], v[26:27], 4, s[22:23]
	global_load_dwordx4 v[26:29], v[26:27], off
	s_waitcnt vmcnt(0)
	ds_write2_b64 v32, v[26:27], v[28:29] offset1:1
.LBB39_18:                              ;   in Loop: Header=BB39_11 Depth=1
	s_or_b64 exec, exec, s[10:11]
	s_waitcnt lgkmcnt(0)
	s_barrier
	s_and_saveexec_b64 s[10:11], vcc
	s_cbranch_execz .LBB39_10
; %bb.19:                               ;   in Loop: Header=BB39_11 Depth=1
	s_and_saveexec_b64 s[12:13], s[4:5]
	s_cbranch_execz .LBB39_22
; %bb.20:                               ;   in Loop: Header=BB39_11 Depth=1
	v_mov_b32_e32 v26, v31
	v_mov_b32_e32 v27, v11
	s_mov_b32 s31, s3
.LBB39_21:                              ;   Parent Loop BB39_11 Depth=1
                                        ; =>  This Inner Loop Header: Depth=2
	ds_read_b128 v[36:39], v26
	ds_read_b128 v[40:43], v27
	s_add_i32 s31, s31, -1
	v_add_u32_e32 v27, 16, v27
	v_add_u32_e32 v26, 16, v26
	s_cmp_lg_u32 s31, 0
	s_waitcnt lgkmcnt(0)
	v_fmac_f64_e32 v[0:1], v[36:37], v[40:41]
	v_fmac_f64_e32 v[12:13], v[38:39], v[40:41]
	v_fma_f64 v[0:1], -v[38:39], v[42:43], v[0:1]
	v_fmac_f64_e32 v[12:13], v[36:37], v[42:43]
	s_cbranch_scc1 .LBB39_21
.LBB39_22:                              ;   in Loop: Header=BB39_11 Depth=1
	s_or_b64 exec, exec, s[12:13]
	s_and_saveexec_b64 s[12:13], s[6:7]
	s_cbranch_execz .LBB39_9
; %bb.23:                               ;   in Loop: Header=BB39_11 Depth=1
	v_mov_b32_e32 v26, v31
	s_mov_b32 s31, s3
	v_mov_b32_e32 v27, v35
.LBB39_24:                              ;   Parent Loop BB39_11 Depth=1
                                        ; =>  This Inner Loop Header: Depth=2
	ds_read_b128 v[36:39], v26
	ds_read_b128 v[40:43], v27
	s_add_i32 s31, s31, -1
	v_add_u32_e32 v27, 16, v27
	v_add_u32_e32 v26, 16, v26
	s_cmp_lg_u32 s31, 0
	s_waitcnt lgkmcnt(0)
	v_fmac_f64_e32 v[16:17], v[36:37], v[40:41]
	v_fmac_f64_e32 v[18:19], v[38:39], v[40:41]
	v_fma_f64 v[16:17], -v[38:39], v[42:43], v[16:17]
	v_fmac_f64_e32 v[18:19], v[36:37], v[42:43]
	s_cbranch_scc1 .LBB39_24
	s_branch .LBB39_9
.LBB39_25:
	s_and_b64 s[4:5], s[18:19], vcc
	s_and_b64 exec, exec, s[4:5]
	s_cbranch_execz .LBB39_48
; %bb.26:
	s_mul_i32 s2, s3, s2
	v_add_u32_e32 v10, s2, v10
	s_load_dwordx2 s[2:3], s[0:1], 0x80
	v_cmp_neq_f64_e32 vcc, 0, v[6:7]
	v_cmp_neq_f64_e64 s[0:1], 0, v[8:9]
	v_ashrrev_i32_e32 v11, 31, v10
	s_or_b64 s[4:5], vcc, s[0:1]
	s_waitcnt lgkmcnt(0)
	v_mul_lo_u32 v15, s2, v11
	v_mul_lo_u32 v21, s3, v10
	v_mad_u64_u32 v[22:23], s[6:7], s2, v10, 0
	s_cmp_lg_u32 s16, 1
	v_add3_u32 v23, v23, v15, v21
	s_cselect_b64 s[0:1], -1, 0
	v_lshl_add_u64 v[24:25], v[22:23], 4, s[28:29]
	v_lshl_add_u64 v[22:23], v[10:11], 4, s[28:29]
	v_cmp_gt_i32_e32 vcc, s15, v20
	s_and_saveexec_b64 s[6:7], vcc
	s_cbranch_execz .LBB39_37
; %bb.27:
	v_ashrrev_i32_e32 v21, 31, v20
	s_and_saveexec_b64 s[8:9], s[4:5]
	s_xor_b64 s[8:9], exec, s[8:9]
	s_cbranch_execz .LBB39_32
; %bb.28:
	s_mov_b64 s[10:11], -1
	s_and_b64 vcc, exec, s[0:1]
	s_cbranch_vccz .LBB39_30
; %bb.29:
	v_lshl_add_u64 v[10:11], v[20:21], 4, v[24:25]
	global_load_dwordx4 v[26:29], v[10:11], off
	v_mul_f64 v[30:31], v[12:13], -v[4:5]
	v_mul_f64 v[32:33], v[2:3], v[12:13]
	v_fmac_f64_e32 v[30:31], v[2:3], v[0:1]
	v_fmac_f64_e32 v[32:33], v[4:5], v[0:1]
	s_mov_b64 s[10:11], 0
	s_waitcnt vmcnt(0)
	v_fmac_f64_e32 v[30:31], v[6:7], v[26:27]
	v_fmac_f64_e32 v[32:33], v[8:9], v[26:27]
	v_fma_f64 v[30:31], -v[8:9], v[28:29], v[30:31]
	v_fmac_f64_e32 v[32:33], v[6:7], v[28:29]
	global_store_dwordx4 v[10:11], v[30:33], off
.LBB39_30:
	s_andn2_b64 vcc, exec, s[10:11]
	s_cbranch_vccnz .LBB39_32
; %bb.31:
	v_mul_lo_u32 v15, s3, v20
	v_mul_lo_u32 v21, s2, v21
	v_mad_u64_u32 v[10:11], s[10:11], s2, v20, 0
	v_add3_u32 v11, v11, v21, v15
	v_lshl_add_u64 v[20:21], v[10:11], 4, v[22:23]
	global_load_dwordx4 v[26:29], v[20:21], off
	v_mul_f64 v[10:11], v[12:13], -v[4:5]
	v_mul_f64 v[12:13], v[2:3], v[12:13]
	v_fmac_f64_e32 v[10:11], v[2:3], v[0:1]
	v_fmac_f64_e32 v[12:13], v[4:5], v[0:1]
                                        ; implicit-def: $vgpr0_vgpr1
	s_waitcnt vmcnt(0)
	v_fmac_f64_e32 v[10:11], v[6:7], v[26:27]
	v_fmac_f64_e32 v[12:13], v[8:9], v[26:27]
	v_fma_f64 v[10:11], -v[8:9], v[28:29], v[10:11]
	v_fmac_f64_e32 v[12:13], v[6:7], v[28:29]
	global_store_dwordx4 v[20:21], v[10:13], off
                                        ; implicit-def: $vgpr12_vgpr13
                                        ; implicit-def: $vgpr20
.LBB39_32:
	s_andn2_saveexec_b64 s[8:9], s[8:9]
	s_cbranch_execz .LBB39_37
; %bb.33:
	v_mul_f64 v[10:11], v[12:13], -v[4:5]
	v_mul_f64 v[12:13], v[2:3], v[12:13]
	v_fmac_f64_e32 v[10:11], v[2:3], v[0:1]
	v_fmac_f64_e32 v[12:13], v[4:5], v[0:1]
	s_mov_b64 s[8:9], -1
	s_and_b64 vcc, exec, s[0:1]
	s_cbranch_vccz .LBB39_35
; %bb.34:
	v_lshl_add_u64 v[0:1], v[20:21], 4, v[24:25]
	global_store_dwordx4 v[0:1], v[10:13], off
	s_mov_b64 s[8:9], 0
.LBB39_35:
	s_andn2_b64 vcc, exec, s[8:9]
	s_cbranch_vccnz .LBB39_37
; %bb.36:
	v_mul_lo_u32 v15, s3, v20
	v_mul_lo_u32 v21, s2, v21
	v_mad_u64_u32 v[0:1], s[8:9], s2, v20, 0
	v_add3_u32 v1, v1, v21, v15
	v_lshl_add_u64 v[0:1], v[0:1], 4, v[22:23]
	global_store_dwordx4 v[0:1], v[10:13], off
.LBB39_37:
	s_or_b64 exec, exec, s[6:7]
	v_cmp_gt_i32_e32 vcc, s15, v14
	s_and_b64 exec, exec, vcc
	s_cbranch_execz .LBB39_48
; %bb.38:
	v_cndmask_b32_e64 v0, 0, 1, s[0:1]
	v_ashrrev_i32_e32 v15, 31, v14
	v_cmp_ne_u32_e64 s[0:1], 1, v0
	s_and_saveexec_b64 s[6:7], s[4:5]
	s_xor_b64 s[4:5], exec, s[6:7]
	s_cbranch_execz .LBB39_43
; %bb.39:
	s_and_b64 vcc, exec, s[0:1]
	s_mov_b64 s[6:7], -1
	s_cbranch_vccnz .LBB39_41
; %bb.40:
	v_lshl_add_u64 v[0:1], v[14:15], 4, v[24:25]
	global_load_dwordx4 v[10:13], v[0:1], off
	v_mul_f64 v[20:21], v[18:19], -v[4:5]
	v_mul_f64 v[26:27], v[2:3], v[18:19]
	v_fmac_f64_e32 v[20:21], v[2:3], v[16:17]
	v_fmac_f64_e32 v[26:27], v[4:5], v[16:17]
	s_mov_b64 s[6:7], 0
	s_waitcnt vmcnt(0)
	v_fmac_f64_e32 v[20:21], v[6:7], v[10:11]
	v_fmac_f64_e32 v[26:27], v[8:9], v[10:11]
	v_fma_f64 v[24:25], -v[8:9], v[12:13], v[20:21]
	v_fmac_f64_e32 v[26:27], v[6:7], v[12:13]
	global_store_dwordx4 v[0:1], v[24:27], off
.LBB39_41:
	s_andn2_b64 vcc, exec, s[6:7]
                                        ; implicit-def: $vgpr24_vgpr25
	s_cbranch_vccnz .LBB39_43
; %bb.42:
	v_mul_lo_u32 v10, s3, v14
	v_mul_lo_u32 v11, s2, v15
	v_mad_u64_u32 v[0:1], s[6:7], s2, v14, 0
	v_add3_u32 v1, v1, v11, v10
	v_lshl_add_u64 v[0:1], v[0:1], 4, v[22:23]
	global_load_dwordx4 v[10:13], v[0:1], off
	v_mul_f64 v[14:15], v[18:19], -v[4:5]
	v_mul_f64 v[18:19], v[2:3], v[18:19]
	v_fmac_f64_e32 v[14:15], v[2:3], v[16:17]
	v_fmac_f64_e32 v[18:19], v[4:5], v[16:17]
                                        ; implicit-def: $vgpr22_vgpr23
                                        ; implicit-def: $vgpr4_vgpr5
                                        ; implicit-def: $vgpr24_vgpr25
	s_waitcnt vmcnt(0)
	v_fmac_f64_e32 v[14:15], v[6:7], v[10:11]
	v_fmac_f64_e32 v[18:19], v[8:9], v[10:11]
	v_fma_f64 v[16:17], -v[8:9], v[12:13], v[14:15]
	v_fmac_f64_e32 v[18:19], v[6:7], v[12:13]
	global_store_dwordx4 v[0:1], v[16:19], off
                                        ; implicit-def: $vgpr18_vgpr19
                                        ; implicit-def: $vgpr16_vgpr17
                                        ; implicit-def: $vgpr14
.LBB39_43:
	s_andn2_saveexec_b64 s[4:5], s[4:5]
	s_cbranch_execz .LBB39_48
; %bb.44:
	v_mul_f64 v[0:1], v[18:19], -v[4:5]
	v_fmac_f64_e32 v[0:1], v[2:3], v[16:17]
	v_mul_f64 v[2:3], v[2:3], v[18:19]
	v_fmac_f64_e32 v[2:3], v[4:5], v[16:17]
	s_and_b64 vcc, exec, s[0:1]
	s_mov_b64 s[0:1], -1
	s_cbranch_vccnz .LBB39_46
; %bb.45:
	v_lshl_add_u64 v[4:5], v[14:15], 4, v[24:25]
	s_mov_b64 s[0:1], 0
	global_store_dwordx4 v[4:5], v[0:3], off
.LBB39_46:
	s_andn2_b64 vcc, exec, s[0:1]
	s_cbranch_vccnz .LBB39_48
; %bb.47:
	v_mul_lo_u32 v6, s3, v14
	v_mul_lo_u32 v7, s2, v15
	v_mad_u64_u32 v[4:5], s[0:1], s2, v14, 0
	v_add3_u32 v5, v5, v7, v6
	v_lshl_add_u64 v[4:5], v[4:5], 4, v[22:23]
	global_store_dwordx4 v[4:5], v[0:3], off
.LBB39_48:
	s_endpgm
	.section	.rodata,"a",@progbits
	.p2align	6, 0x0
	.amdhsa_kernel _ZN9rocsparseL31bsrmm_large_blockdim_kernel_extILj32ELj32ELj2Eii21rocsparse_complex_numIdES2_S2_S2_EEvb20rocsparse_direction_T3_S4_llNS_24const_host_device_scalarIT7_EEPKT2_PKS4_PKT4_S4_PKT5_llS7_PT6_ll16rocsparse_order_21rocsparse_index_base_b
		.amdhsa_group_segment_fixed_size 49152
		.amdhsa_private_segment_fixed_size 0
		.amdhsa_kernarg_size 156
		.amdhsa_user_sgpr_count 2
		.amdhsa_user_sgpr_dispatch_ptr 0
		.amdhsa_user_sgpr_queue_ptr 0
		.amdhsa_user_sgpr_kernarg_segment_ptr 1
		.amdhsa_user_sgpr_dispatch_id 0
		.amdhsa_user_sgpr_kernarg_preload_length 0
		.amdhsa_user_sgpr_kernarg_preload_offset 0
		.amdhsa_user_sgpr_private_segment_size 0
		.amdhsa_uses_dynamic_stack 0
		.amdhsa_enable_private_segment 0
		.amdhsa_system_sgpr_workgroup_id_x 1
		.amdhsa_system_sgpr_workgroup_id_y 1
		.amdhsa_system_sgpr_workgroup_id_z 0
		.amdhsa_system_sgpr_workgroup_info 0
		.amdhsa_system_vgpr_workitem_id 1
		.amdhsa_next_free_vgpr 44
		.amdhsa_next_free_sgpr 36
		.amdhsa_accum_offset 44
		.amdhsa_reserve_vcc 1
		.amdhsa_float_round_mode_32 0
		.amdhsa_float_round_mode_16_64 0
		.amdhsa_float_denorm_mode_32 3
		.amdhsa_float_denorm_mode_16_64 3
		.amdhsa_dx10_clamp 1
		.amdhsa_ieee_mode 1
		.amdhsa_fp16_overflow 0
		.amdhsa_tg_split 0
		.amdhsa_exception_fp_ieee_invalid_op 0
		.amdhsa_exception_fp_denorm_src 0
		.amdhsa_exception_fp_ieee_div_zero 0
		.amdhsa_exception_fp_ieee_overflow 0
		.amdhsa_exception_fp_ieee_underflow 0
		.amdhsa_exception_fp_ieee_inexact 0
		.amdhsa_exception_int_div_zero 0
	.end_amdhsa_kernel
	.section	.text._ZN9rocsparseL31bsrmm_large_blockdim_kernel_extILj32ELj32ELj2Eii21rocsparse_complex_numIdES2_S2_S2_EEvb20rocsparse_direction_T3_S4_llNS_24const_host_device_scalarIT7_EEPKT2_PKS4_PKT4_S4_PKT5_llS7_PT6_ll16rocsparse_order_21rocsparse_index_base_b,"axG",@progbits,_ZN9rocsparseL31bsrmm_large_blockdim_kernel_extILj32ELj32ELj2Eii21rocsparse_complex_numIdES2_S2_S2_EEvb20rocsparse_direction_T3_S4_llNS_24const_host_device_scalarIT7_EEPKT2_PKS4_PKT4_S4_PKT5_llS7_PT6_ll16rocsparse_order_21rocsparse_index_base_b,comdat
.Lfunc_end39:
	.size	_ZN9rocsparseL31bsrmm_large_blockdim_kernel_extILj32ELj32ELj2Eii21rocsparse_complex_numIdES2_S2_S2_EEvb20rocsparse_direction_T3_S4_llNS_24const_host_device_scalarIT7_EEPKT2_PKS4_PKT4_S4_PKT5_llS7_PT6_ll16rocsparse_order_21rocsparse_index_base_b, .Lfunc_end39-_ZN9rocsparseL31bsrmm_large_blockdim_kernel_extILj32ELj32ELj2Eii21rocsparse_complex_numIdES2_S2_S2_EEvb20rocsparse_direction_T3_S4_llNS_24const_host_device_scalarIT7_EEPKT2_PKS4_PKT4_S4_PKT5_llS7_PT6_ll16rocsparse_order_21rocsparse_index_base_b
                                        ; -- End function
	.set _ZN9rocsparseL31bsrmm_large_blockdim_kernel_extILj32ELj32ELj2Eii21rocsparse_complex_numIdES2_S2_S2_EEvb20rocsparse_direction_T3_S4_llNS_24const_host_device_scalarIT7_EEPKT2_PKS4_PKT4_S4_PKT5_llS7_PT6_ll16rocsparse_order_21rocsparse_index_base_b.num_vgpr, 44
	.set _ZN9rocsparseL31bsrmm_large_blockdim_kernel_extILj32ELj32ELj2Eii21rocsparse_complex_numIdES2_S2_S2_EEvb20rocsparse_direction_T3_S4_llNS_24const_host_device_scalarIT7_EEPKT2_PKS4_PKT4_S4_PKT5_llS7_PT6_ll16rocsparse_order_21rocsparse_index_base_b.num_agpr, 0
	.set _ZN9rocsparseL31bsrmm_large_blockdim_kernel_extILj32ELj32ELj2Eii21rocsparse_complex_numIdES2_S2_S2_EEvb20rocsparse_direction_T3_S4_llNS_24const_host_device_scalarIT7_EEPKT2_PKS4_PKT4_S4_PKT5_llS7_PT6_ll16rocsparse_order_21rocsparse_index_base_b.numbered_sgpr, 36
	.set _ZN9rocsparseL31bsrmm_large_blockdim_kernel_extILj32ELj32ELj2Eii21rocsparse_complex_numIdES2_S2_S2_EEvb20rocsparse_direction_T3_S4_llNS_24const_host_device_scalarIT7_EEPKT2_PKS4_PKT4_S4_PKT5_llS7_PT6_ll16rocsparse_order_21rocsparse_index_base_b.num_named_barrier, 0
	.set _ZN9rocsparseL31bsrmm_large_blockdim_kernel_extILj32ELj32ELj2Eii21rocsparse_complex_numIdES2_S2_S2_EEvb20rocsparse_direction_T3_S4_llNS_24const_host_device_scalarIT7_EEPKT2_PKS4_PKT4_S4_PKT5_llS7_PT6_ll16rocsparse_order_21rocsparse_index_base_b.private_seg_size, 0
	.set _ZN9rocsparseL31bsrmm_large_blockdim_kernel_extILj32ELj32ELj2Eii21rocsparse_complex_numIdES2_S2_S2_EEvb20rocsparse_direction_T3_S4_llNS_24const_host_device_scalarIT7_EEPKT2_PKS4_PKT4_S4_PKT5_llS7_PT6_ll16rocsparse_order_21rocsparse_index_base_b.uses_vcc, 1
	.set _ZN9rocsparseL31bsrmm_large_blockdim_kernel_extILj32ELj32ELj2Eii21rocsparse_complex_numIdES2_S2_S2_EEvb20rocsparse_direction_T3_S4_llNS_24const_host_device_scalarIT7_EEPKT2_PKS4_PKT4_S4_PKT5_llS7_PT6_ll16rocsparse_order_21rocsparse_index_base_b.uses_flat_scratch, 0
	.set _ZN9rocsparseL31bsrmm_large_blockdim_kernel_extILj32ELj32ELj2Eii21rocsparse_complex_numIdES2_S2_S2_EEvb20rocsparse_direction_T3_S4_llNS_24const_host_device_scalarIT7_EEPKT2_PKS4_PKT4_S4_PKT5_llS7_PT6_ll16rocsparse_order_21rocsparse_index_base_b.has_dyn_sized_stack, 0
	.set _ZN9rocsparseL31bsrmm_large_blockdim_kernel_extILj32ELj32ELj2Eii21rocsparse_complex_numIdES2_S2_S2_EEvb20rocsparse_direction_T3_S4_llNS_24const_host_device_scalarIT7_EEPKT2_PKS4_PKT4_S4_PKT5_llS7_PT6_ll16rocsparse_order_21rocsparse_index_base_b.has_recursion, 0
	.set _ZN9rocsparseL31bsrmm_large_blockdim_kernel_extILj32ELj32ELj2Eii21rocsparse_complex_numIdES2_S2_S2_EEvb20rocsparse_direction_T3_S4_llNS_24const_host_device_scalarIT7_EEPKT2_PKS4_PKT4_S4_PKT5_llS7_PT6_ll16rocsparse_order_21rocsparse_index_base_b.has_indirect_call, 0
	.section	.AMDGPU.csdata,"",@progbits
; Kernel info:
; codeLenInByte = 1908
; TotalNumSgprs: 42
; NumVgprs: 44
; NumAgprs: 0
; TotalNumVgprs: 44
; ScratchSize: 0
; MemoryBound: 0
; FloatMode: 240
; IeeeMode: 1
; LDSByteSize: 49152 bytes/workgroup (compile time only)
; SGPRBlocks: 5
; VGPRBlocks: 5
; NumSGPRsForWavesPerEU: 42
; NumVGPRsForWavesPerEU: 44
; AccumOffset: 44
; Occupancy: 8
; WaveLimiterHint : 0
; COMPUTE_PGM_RSRC2:SCRATCH_EN: 0
; COMPUTE_PGM_RSRC2:USER_SGPR: 2
; COMPUTE_PGM_RSRC2:TRAP_HANDLER: 0
; COMPUTE_PGM_RSRC2:TGID_X_EN: 1
; COMPUTE_PGM_RSRC2:TGID_Y_EN: 1
; COMPUTE_PGM_RSRC2:TGID_Z_EN: 0
; COMPUTE_PGM_RSRC2:TIDIG_COMP_CNT: 1
; COMPUTE_PGM_RSRC3_GFX90A:ACCUM_OFFSET: 10
; COMPUTE_PGM_RSRC3_GFX90A:TG_SPLIT: 0
	.section	.text._ZN9rocsparseL31bsrmm_large_blockdim_kernel_extILj8ELj8ELj2Eli21rocsparse_complex_numIdES2_S2_S2_EEvb20rocsparse_direction_T3_S4_llNS_24const_host_device_scalarIT7_EEPKT2_PKS4_PKT4_S4_PKT5_llS7_PT6_ll16rocsparse_order_21rocsparse_index_base_b,"axG",@progbits,_ZN9rocsparseL31bsrmm_large_blockdim_kernel_extILj8ELj8ELj2Eli21rocsparse_complex_numIdES2_S2_S2_EEvb20rocsparse_direction_T3_S4_llNS_24const_host_device_scalarIT7_EEPKT2_PKS4_PKT4_S4_PKT5_llS7_PT6_ll16rocsparse_order_21rocsparse_index_base_b,comdat
	.globl	_ZN9rocsparseL31bsrmm_large_blockdim_kernel_extILj8ELj8ELj2Eli21rocsparse_complex_numIdES2_S2_S2_EEvb20rocsparse_direction_T3_S4_llNS_24const_host_device_scalarIT7_EEPKT2_PKS4_PKT4_S4_PKT5_llS7_PT6_ll16rocsparse_order_21rocsparse_index_base_b ; -- Begin function _ZN9rocsparseL31bsrmm_large_blockdim_kernel_extILj8ELj8ELj2Eli21rocsparse_complex_numIdES2_S2_S2_EEvb20rocsparse_direction_T3_S4_llNS_24const_host_device_scalarIT7_EEPKT2_PKS4_PKT4_S4_PKT5_llS7_PT6_ll16rocsparse_order_21rocsparse_index_base_b
	.p2align	8
	.type	_ZN9rocsparseL31bsrmm_large_blockdim_kernel_extILj8ELj8ELj2Eli21rocsparse_complex_numIdES2_S2_S2_EEvb20rocsparse_direction_T3_S4_llNS_24const_host_device_scalarIT7_EEPKT2_PKS4_PKT4_S4_PKT5_llS7_PT6_ll16rocsparse_order_21rocsparse_index_base_b,@function
_ZN9rocsparseL31bsrmm_large_blockdim_kernel_extILj8ELj8ELj2Eli21rocsparse_complex_numIdES2_S2_S2_EEvb20rocsparse_direction_T3_S4_llNS_24const_host_device_scalarIT7_EEPKT2_PKS4_PKT4_S4_PKT5_llS7_PT6_ll16rocsparse_order_21rocsparse_index_base_b: ; @_ZN9rocsparseL31bsrmm_large_blockdim_kernel_extILj8ELj8ELj2Eli21rocsparse_complex_numIdES2_S2_S2_EEvb20rocsparse_direction_T3_S4_llNS_24const_host_device_scalarIT7_EEPKT2_PKS4_PKT4_S4_PKT5_llS7_PT6_ll16rocsparse_order_21rocsparse_index_base_b
; %bb.0:
	s_load_dwordx2 s[6:7], s[0:1], 0x20
	s_load_dwordx4 s[16:19], s[0:1], 0x90
	s_mov_b32 s4, s3
	s_add_u32 s3, s0, 32
	s_addc_u32 s5, s1, 0
	s_add_u32 s10, s0, 0x68
	s_load_dwordx2 s[8:9], s[0:1], 0x68
	s_addc_u32 s11, s1, 0
	s_waitcnt lgkmcnt(0)
	s_bitcmp1_b32 s18, 0
	s_cselect_b32 s5, s5, s7
	s_cselect_b32 s3, s3, s6
	v_mov_b32_e32 v2, s3
	v_mov_b32_e32 v3, s5
	flat_load_dwordx4 v[2:5], v[2:3]
	s_cselect_b32 s3, s11, s9
	s_cselect_b32 s5, s10, s8
	v_mov_b32_e32 v6, s5
	v_mov_b32_e32 v7, s3
	flat_load_dwordx4 v[6:9], v[6:7]
	s_waitcnt vmcnt(0) lgkmcnt(0)
	v_cmp_eq_f64_e32 vcc, 0, v[2:3]
	v_cmp_eq_f64_e64 s[6:7], 0, v[4:5]
	s_and_b64 s[10:11], vcc, s[6:7]
	s_mov_b64 s[6:7], -1
	s_and_saveexec_b64 s[8:9], s[10:11]
; %bb.1:
	v_cmp_neq_f64_e32 vcc, 1.0, v[6:7]
	v_cmp_neq_f64_e64 s[6:7], 0, v[8:9]
	s_or_b64 s[6:7], vcc, s[6:7]
	s_orn2_b64 s[6:7], s[6:7], exec
; %bb.2:
	s_or_b64 exec, exec, s[8:9]
	s_and_saveexec_b64 s[8:9], s[6:7]
	s_cbranch_execz .LBB40_48
; %bb.3:
	s_load_dwordx4 s[12:15], s[0:1], 0x0
	s_load_dwordx2 s[6:7], s[0:1], 0x30
	s_mov_b64 s[30:31], 0
	s_mov_b64 s[34:35], 0
	s_waitcnt lgkmcnt(0)
	s_cmp_lt_i32 s2, s14
	s_cselect_b64 s[18:19], -1, 0
	s_cmp_ge_i32 s2, s14
	s_cbranch_scc1 .LBB40_5
; %bb.4:
	s_ashr_i32 s3, s2, 31
	s_lshl_b64 s[8:9], s[2:3], 3
	s_add_u32 s8, s6, s8
	s_addc_u32 s9, s7, s9
	s_load_dwordx2 s[8:9], s[8:9], 0x0
	s_waitcnt lgkmcnt(0)
	s_sub_u32 s34, s8, s17
	s_subb_u32 s35, s9, 0
.LBB40_5:
	s_andn2_b64 vcc, exec, s[18:19]
	s_cbranch_vccnz .LBB40_7
; %bb.6:
	s_ashr_i32 s3, s2, 31
	s_lshl_b64 s[8:9], s[2:3], 3
	s_add_u32 s6, s6, s8
	s_addc_u32 s7, s7, s9
	s_load_dwordx2 s[6:7], s[6:7], 0x8
	s_waitcnt lgkmcnt(0)
	s_sub_u32 s30, s6, s17
	s_subb_u32 s31, s7, 0
.LBB40_7:
	s_load_dwordx2 s[28:29], s[0:1], 0x78
	s_load_dword s3, s[0:1], 0x48
	v_bfe_u32 v10, v0, 10, 10
	v_lshl_add_u32 v20, s4, 4, v10
	v_and_b32_e32 v30, 0x3ff, v0
	v_mov_b64_e32 v[0:1], s[30:31]
	v_add_u32_e32 v14, 8, v20
	v_cmp_ge_i64_e32 vcc, s[34:35], v[0:1]
	s_waitcnt lgkmcnt(0)
	v_cmp_gt_i32_e64 s[4:5], s3, v30
	v_mov_b64_e32 v[0:1], 0
	s_and_b64 vcc, exec, vcc
	v_cmp_gt_i32_e64 s[6:7], s15, v20
	v_cmp_gt_i32_e64 s[8:9], s15, v14
	v_mov_b64_e32 v[12:13], 0
	v_mov_b64_e32 v[16:17], 0
	;; [unrolled: 1-line block ×3, first 2 shown]
	s_cbranch_vccnz .LBB40_25
; %bb.8:
	s_load_dwordx4 s[20:23], s[0:1], 0x38
	s_load_dwordx4 s[24:27], s[0:1], 0x50
	v_cmp_gt_i32_e32 vcc, s3, v10
	v_lshlrev_b32_e32 v0, 4, v10
	v_lshlrev_b32_e32 v31, 7, v10
	v_mul_lo_u32 v10, s3, v10
	v_mov_b32_e32 v11, 0
	s_and_b64 s[36:37], s[4:5], vcc
	v_lshlrev_b32_e32 v12, 4, v30
	s_waitcnt lgkmcnt(0)
	v_lshl_add_u64 v[16:17], v[10:11], 4, s[22:23]
	v_mov_b32_e32 v13, v11
	v_mov_b32_e32 v1, 0x800
	v_mul_lo_u32 v10, s3, v30
	s_bitcmp1_b32 s12, 0
	v_add_u32_e32 v32, v31, v12
	v_lshl_add_u64 v[12:13], v[16:17], 0, v[12:13]
	v_lshl_add_u32 v33, v30, 7, v1
	v_lshl_add_u64 v[16:17], v[10:11], 4, s[22:23]
	v_mov_b32_e32 v1, v11
	v_ashrrev_i32_e32 v21, 31, v20
	s_cselect_b64 s[10:11], -1, 0
	s_cmp_eq_u32 s13, 0
	v_add_u32_e32 v34, v33, v0
	v_lshl_add_u64 v[0:1], v[16:17], 0, v[0:1]
	v_mul_lo_u32 v15, s27, v20
	v_mul_lo_u32 v16, s26, v21
	v_mad_u64_u32 v[10:11], s[12:13], s26, v20, 0
	v_add3_u32 v11, v11, v16, v15
	v_ashrrev_i32_e32 v15, 31, v14
	v_mul_lo_u32 v16, s27, v14
	v_mul_lo_u32 v17, s26, v15
	v_mad_u64_u32 v[22:23], s[12:13], s26, v14, 0
	s_cselect_b64 vcc, -1, 0
	s_mul_i32 s14, s3, s3
	v_add_u32_e32 v35, 0x400, v32
	v_add3_u32 v23, v23, v17, v16
	v_cndmask_b32_e32 v25, v13, v1, vcc
	v_cndmask_b32_e32 v24, v12, v0, vcc
	v_add_u32_e32 v36, 0x400, v31
	v_mov_b64_e32 v[18:19], 0
	v_mov_b64_e32 v[16:17], 0
	;; [unrolled: 1-line block ×4, first 2 shown]
	s_branch .LBB40_11
.LBB40_9:                               ;   in Loop: Header=BB40_11 Depth=1
	s_or_b64 exec, exec, s[22:23]
.LBB40_10:                              ;   in Loop: Header=BB40_11 Depth=1
	s_or_b64 exec, exec, s[12:13]
	s_add_u32 s34, s34, 1
	s_addc_u32 s35, s35, 0
	v_mov_b64_e32 v[26:27], s[30:31]
	v_cmp_ge_i64_e32 vcc, s[34:35], v[26:27]
	; wave barrier
	s_cbranch_vccnz .LBB40_25
.LBB40_11:                              ; =>This Loop Header: Depth=1
                                        ;     Child Loop BB40_21 Depth 2
                                        ;     Child Loop BB40_24 Depth 2
	s_and_saveexec_b64 s[12:13], s[4:5]
	s_cbranch_execz .LBB40_16
; %bb.12:                               ;   in Loop: Header=BB40_11 Depth=1
	s_lshl_b64 s[22:23], s[34:35], 2
	s_add_u32 s22, s20, s22
	s_addc_u32 s23, s21, s23
	s_load_dword s22, s[22:23], 0x0
	s_waitcnt lgkmcnt(0)
	s_sub_i32 s22, s22, s17
	s_mul_i32 s22, s22, s3
	v_add_u32_e32 v28, s22, v30
	v_ashrrev_i32_e32 v29, 31, v28
	v_mul_lo_u32 v37, s27, v28
	v_mad_u64_u32 v[26:27], s[22:23], s26, v28, 0
	v_mul_lo_u32 v38, s26, v29
	v_add3_u32 v27, v27, v38, v37
	v_lshl_add_u64 v[26:27], v[26:27], 4, s[24:25]
	v_lshl_add_u64 v[28:29], v[28:29], 4, s[24:25]
	s_and_saveexec_b64 s[22:23], s[6:7]
	s_cbranch_execz .LBB40_14
; %bb.13:                               ;   in Loop: Header=BB40_11 Depth=1
	v_lshl_add_u64 v[38:39], v[10:11], 4, v[28:29]
	v_lshl_add_u64 v[40:41], v[20:21], 4, v[26:27]
	v_cndmask_b32_e64 v39, v41, v39, s[10:11]
	v_cndmask_b32_e64 v38, v40, v38, s[10:11]
	global_load_dwordx4 v[38:41], v[38:39], off
	s_waitcnt vmcnt(0)
	ds_write2_b64 v32, v[38:39], v[40:41] offset1:1
.LBB40_14:                              ;   in Loop: Header=BB40_11 Depth=1
	s_or_b64 exec, exec, s[22:23]
	s_and_b64 exec, exec, s[8:9]
	s_cbranch_execz .LBB40_16
; %bb.15:                               ;   in Loop: Header=BB40_11 Depth=1
	v_lshl_add_u64 v[28:29], v[22:23], 4, v[28:29]
	v_lshl_add_u64 v[26:27], v[14:15], 4, v[26:27]
	v_cndmask_b32_e64 v27, v27, v29, s[10:11]
	v_cndmask_b32_e64 v26, v26, v28, s[10:11]
	global_load_dwordx4 v[26:29], v[26:27], off
	s_waitcnt vmcnt(0)
	ds_write2_b64 v35, v[26:27], v[28:29] offset1:1
.LBB40_16:                              ;   in Loop: Header=BB40_11 Depth=1
	s_or_b64 exec, exec, s[12:13]
	s_and_saveexec_b64 s[12:13], s[36:37]
	s_cbranch_execz .LBB40_18
; %bb.17:                               ;   in Loop: Header=BB40_11 Depth=1
	s_mul_i32 s22, s35, s14
	s_mul_hi_u32 s23, s34, s14
	s_add_i32 s23, s23, s22
	s_mul_i32 s22, s34, s14
	v_lshl_add_u64 v[26:27], s[22:23], 4, v[24:25]
	global_load_dwordx4 v[26:29], v[26:27], off
	s_waitcnt vmcnt(0)
	ds_write2_b64 v34, v[26:27], v[28:29] offset1:1
.LBB40_18:                              ;   in Loop: Header=BB40_11 Depth=1
	s_or_b64 exec, exec, s[12:13]
	s_waitcnt lgkmcnt(0)
	; wave barrier
	s_and_saveexec_b64 s[12:13], s[4:5]
	s_cbranch_execz .LBB40_10
; %bb.19:                               ;   in Loop: Header=BB40_11 Depth=1
	s_and_saveexec_b64 s[22:23], s[6:7]
	s_cbranch_execz .LBB40_22
; %bb.20:                               ;   in Loop: Header=BB40_11 Depth=1
	v_mov_b32_e32 v26, v33
	v_mov_b32_e32 v27, v31
	s_mov_b32 s33, s3
.LBB40_21:                              ;   Parent Loop BB40_11 Depth=1
                                        ; =>  This Inner Loop Header: Depth=2
	ds_read_b128 v[38:41], v26
	ds_read_b128 v[42:45], v27
	s_add_i32 s33, s33, -1
	v_add_u32_e32 v27, 16, v27
	v_add_u32_e32 v26, 16, v26
	s_cmp_lg_u32 s33, 0
	s_waitcnt lgkmcnt(0)
	v_fmac_f64_e32 v[0:1], v[38:39], v[42:43]
	v_fmac_f64_e32 v[12:13], v[40:41], v[42:43]
	v_fma_f64 v[0:1], -v[40:41], v[44:45], v[0:1]
	v_fmac_f64_e32 v[12:13], v[38:39], v[44:45]
	s_cbranch_scc1 .LBB40_21
.LBB40_22:                              ;   in Loop: Header=BB40_11 Depth=1
	s_or_b64 exec, exec, s[22:23]
	s_and_saveexec_b64 s[22:23], s[8:9]
	s_cbranch_execz .LBB40_9
; %bb.23:                               ;   in Loop: Header=BB40_11 Depth=1
	v_mov_b32_e32 v26, v33
	s_mov_b32 s33, s3
	v_mov_b32_e32 v27, v36
.LBB40_24:                              ;   Parent Loop BB40_11 Depth=1
                                        ; =>  This Inner Loop Header: Depth=2
	ds_read_b128 v[38:41], v26
	ds_read_b128 v[42:45], v27
	s_add_i32 s33, s33, -1
	v_add_u32_e32 v27, 16, v27
	v_add_u32_e32 v26, 16, v26
	s_cmp_lg_u32 s33, 0
	s_waitcnt lgkmcnt(0)
	v_fmac_f64_e32 v[16:17], v[38:39], v[42:43]
	v_fmac_f64_e32 v[18:19], v[40:41], v[42:43]
	v_fma_f64 v[16:17], -v[40:41], v[44:45], v[16:17]
	v_fmac_f64_e32 v[18:19], v[38:39], v[44:45]
	s_cbranch_scc1 .LBB40_24
	s_branch .LBB40_9
.LBB40_25:
	s_and_b64 s[4:5], s[18:19], s[4:5]
	s_and_b64 exec, exec, s[4:5]
	s_cbranch_execz .LBB40_48
; %bb.26:
	s_mul_i32 s2, s3, s2
	v_add_u32_e32 v10, s2, v30
	s_load_dwordx2 s[2:3], s[0:1], 0x80
	v_cmp_neq_f64_e32 vcc, 0, v[6:7]
	v_cmp_neq_f64_e64 s[0:1], 0, v[8:9]
	v_ashrrev_i32_e32 v11, 31, v10
	s_or_b64 s[4:5], vcc, s[0:1]
	s_waitcnt lgkmcnt(0)
	v_mul_lo_u32 v15, s2, v11
	v_mul_lo_u32 v21, s3, v10
	v_mad_u64_u32 v[22:23], s[6:7], s2, v10, 0
	s_cmp_lg_u32 s16, 1
	v_add3_u32 v23, v23, v15, v21
	s_cselect_b64 s[0:1], -1, 0
	v_lshl_add_u64 v[24:25], v[22:23], 4, s[28:29]
	v_lshl_add_u64 v[22:23], v[10:11], 4, s[28:29]
	v_cmp_gt_i32_e32 vcc, s15, v20
	s_and_saveexec_b64 s[6:7], vcc
	s_cbranch_execz .LBB40_37
; %bb.27:
	v_ashrrev_i32_e32 v21, 31, v20
	s_and_saveexec_b64 s[8:9], s[4:5]
	s_xor_b64 s[8:9], exec, s[8:9]
	s_cbranch_execz .LBB40_32
; %bb.28:
	s_mov_b64 s[10:11], -1
	s_and_b64 vcc, exec, s[0:1]
	s_cbranch_vccz .LBB40_30
; %bb.29:
	v_lshl_add_u64 v[10:11], v[20:21], 4, v[24:25]
	global_load_dwordx4 v[26:29], v[10:11], off
	v_mul_f64 v[30:31], v[12:13], -v[4:5]
	v_mul_f64 v[32:33], v[2:3], v[12:13]
	v_fmac_f64_e32 v[30:31], v[2:3], v[0:1]
	v_fmac_f64_e32 v[32:33], v[4:5], v[0:1]
	s_mov_b64 s[10:11], 0
	s_waitcnt vmcnt(0)
	v_fmac_f64_e32 v[30:31], v[6:7], v[26:27]
	v_fmac_f64_e32 v[32:33], v[8:9], v[26:27]
	v_fma_f64 v[30:31], -v[8:9], v[28:29], v[30:31]
	v_fmac_f64_e32 v[32:33], v[6:7], v[28:29]
	global_store_dwordx4 v[10:11], v[30:33], off
.LBB40_30:
	s_andn2_b64 vcc, exec, s[10:11]
	s_cbranch_vccnz .LBB40_32
; %bb.31:
	v_mul_lo_u32 v15, s3, v20
	v_mul_lo_u32 v21, s2, v21
	v_mad_u64_u32 v[10:11], s[10:11], s2, v20, 0
	v_add3_u32 v11, v11, v21, v15
	v_lshl_add_u64 v[20:21], v[10:11], 4, v[22:23]
	global_load_dwordx4 v[26:29], v[20:21], off
	v_mul_f64 v[10:11], v[12:13], -v[4:5]
	v_mul_f64 v[12:13], v[2:3], v[12:13]
	v_fmac_f64_e32 v[10:11], v[2:3], v[0:1]
	v_fmac_f64_e32 v[12:13], v[4:5], v[0:1]
                                        ; implicit-def: $vgpr0_vgpr1
	s_waitcnt vmcnt(0)
	v_fmac_f64_e32 v[10:11], v[6:7], v[26:27]
	v_fmac_f64_e32 v[12:13], v[8:9], v[26:27]
	v_fma_f64 v[10:11], -v[8:9], v[28:29], v[10:11]
	v_fmac_f64_e32 v[12:13], v[6:7], v[28:29]
	global_store_dwordx4 v[20:21], v[10:13], off
                                        ; implicit-def: $vgpr12_vgpr13
                                        ; implicit-def: $vgpr20
.LBB40_32:
	s_andn2_saveexec_b64 s[8:9], s[8:9]
	s_cbranch_execz .LBB40_37
; %bb.33:
	v_mul_f64 v[10:11], v[12:13], -v[4:5]
	v_mul_f64 v[12:13], v[2:3], v[12:13]
	v_fmac_f64_e32 v[10:11], v[2:3], v[0:1]
	v_fmac_f64_e32 v[12:13], v[4:5], v[0:1]
	s_mov_b64 s[8:9], -1
	s_and_b64 vcc, exec, s[0:1]
	s_cbranch_vccz .LBB40_35
; %bb.34:
	v_lshl_add_u64 v[0:1], v[20:21], 4, v[24:25]
	global_store_dwordx4 v[0:1], v[10:13], off
	s_mov_b64 s[8:9], 0
.LBB40_35:
	s_andn2_b64 vcc, exec, s[8:9]
	s_cbranch_vccnz .LBB40_37
; %bb.36:
	v_mul_lo_u32 v15, s3, v20
	v_mul_lo_u32 v21, s2, v21
	v_mad_u64_u32 v[0:1], s[8:9], s2, v20, 0
	v_add3_u32 v1, v1, v21, v15
	v_lshl_add_u64 v[0:1], v[0:1], 4, v[22:23]
	global_store_dwordx4 v[0:1], v[10:13], off
.LBB40_37:
	s_or_b64 exec, exec, s[6:7]
	v_cmp_gt_i32_e32 vcc, s15, v14
	s_and_b64 exec, exec, vcc
	s_cbranch_execz .LBB40_48
; %bb.38:
	v_cndmask_b32_e64 v0, 0, 1, s[0:1]
	v_ashrrev_i32_e32 v15, 31, v14
	v_cmp_ne_u32_e64 s[0:1], 1, v0
	s_and_saveexec_b64 s[6:7], s[4:5]
	s_xor_b64 s[4:5], exec, s[6:7]
	s_cbranch_execz .LBB40_43
; %bb.39:
	s_and_b64 vcc, exec, s[0:1]
	s_mov_b64 s[6:7], -1
	s_cbranch_vccnz .LBB40_41
; %bb.40:
	v_lshl_add_u64 v[0:1], v[14:15], 4, v[24:25]
	global_load_dwordx4 v[10:13], v[0:1], off
	v_mul_f64 v[20:21], v[18:19], -v[4:5]
	v_mul_f64 v[26:27], v[2:3], v[18:19]
	v_fmac_f64_e32 v[20:21], v[2:3], v[16:17]
	v_fmac_f64_e32 v[26:27], v[4:5], v[16:17]
	s_mov_b64 s[6:7], 0
	s_waitcnt vmcnt(0)
	v_fmac_f64_e32 v[20:21], v[6:7], v[10:11]
	v_fmac_f64_e32 v[26:27], v[8:9], v[10:11]
	v_fma_f64 v[24:25], -v[8:9], v[12:13], v[20:21]
	v_fmac_f64_e32 v[26:27], v[6:7], v[12:13]
	global_store_dwordx4 v[0:1], v[24:27], off
.LBB40_41:
	s_andn2_b64 vcc, exec, s[6:7]
                                        ; implicit-def: $vgpr24_vgpr25
	s_cbranch_vccnz .LBB40_43
; %bb.42:
	v_mul_lo_u32 v10, s3, v14
	v_mul_lo_u32 v11, s2, v15
	v_mad_u64_u32 v[0:1], s[6:7], s2, v14, 0
	v_add3_u32 v1, v1, v11, v10
	v_lshl_add_u64 v[0:1], v[0:1], 4, v[22:23]
	global_load_dwordx4 v[10:13], v[0:1], off
	v_mul_f64 v[14:15], v[18:19], -v[4:5]
	v_mul_f64 v[18:19], v[2:3], v[18:19]
	v_fmac_f64_e32 v[14:15], v[2:3], v[16:17]
	v_fmac_f64_e32 v[18:19], v[4:5], v[16:17]
                                        ; implicit-def: $vgpr22_vgpr23
                                        ; implicit-def: $vgpr4_vgpr5
                                        ; implicit-def: $vgpr24_vgpr25
	s_waitcnt vmcnt(0)
	v_fmac_f64_e32 v[14:15], v[6:7], v[10:11]
	v_fmac_f64_e32 v[18:19], v[8:9], v[10:11]
	v_fma_f64 v[16:17], -v[8:9], v[12:13], v[14:15]
	v_fmac_f64_e32 v[18:19], v[6:7], v[12:13]
	global_store_dwordx4 v[0:1], v[16:19], off
                                        ; implicit-def: $vgpr18_vgpr19
                                        ; implicit-def: $vgpr16_vgpr17
                                        ; implicit-def: $vgpr14
.LBB40_43:
	s_andn2_saveexec_b64 s[4:5], s[4:5]
	s_cbranch_execz .LBB40_48
; %bb.44:
	v_mul_f64 v[0:1], v[18:19], -v[4:5]
	v_fmac_f64_e32 v[0:1], v[2:3], v[16:17]
	v_mul_f64 v[2:3], v[2:3], v[18:19]
	v_fmac_f64_e32 v[2:3], v[4:5], v[16:17]
	s_and_b64 vcc, exec, s[0:1]
	s_mov_b64 s[0:1], -1
	s_cbranch_vccnz .LBB40_46
; %bb.45:
	v_lshl_add_u64 v[4:5], v[14:15], 4, v[24:25]
	s_mov_b64 s[0:1], 0
	global_store_dwordx4 v[4:5], v[0:3], off
.LBB40_46:
	s_andn2_b64 vcc, exec, s[0:1]
	s_cbranch_vccnz .LBB40_48
; %bb.47:
	v_mul_lo_u32 v6, s3, v14
	v_mul_lo_u32 v7, s2, v15
	v_mad_u64_u32 v[4:5], s[0:1], s2, v14, 0
	v_add3_u32 v5, v5, v7, v6
	v_lshl_add_u64 v[4:5], v[4:5], 4, v[22:23]
	global_store_dwordx4 v[4:5], v[0:3], off
.LBB40_48:
	s_endpgm
	.section	.rodata,"a",@progbits
	.p2align	6, 0x0
	.amdhsa_kernel _ZN9rocsparseL31bsrmm_large_blockdim_kernel_extILj8ELj8ELj2Eli21rocsparse_complex_numIdES2_S2_S2_EEvb20rocsparse_direction_T3_S4_llNS_24const_host_device_scalarIT7_EEPKT2_PKS4_PKT4_S4_PKT5_llS7_PT6_ll16rocsparse_order_21rocsparse_index_base_b
		.amdhsa_group_segment_fixed_size 3072
		.amdhsa_private_segment_fixed_size 0
		.amdhsa_kernarg_size 156
		.amdhsa_user_sgpr_count 2
		.amdhsa_user_sgpr_dispatch_ptr 0
		.amdhsa_user_sgpr_queue_ptr 0
		.amdhsa_user_sgpr_kernarg_segment_ptr 1
		.amdhsa_user_sgpr_dispatch_id 0
		.amdhsa_user_sgpr_kernarg_preload_length 0
		.amdhsa_user_sgpr_kernarg_preload_offset 0
		.amdhsa_user_sgpr_private_segment_size 0
		.amdhsa_uses_dynamic_stack 0
		.amdhsa_enable_private_segment 0
		.amdhsa_system_sgpr_workgroup_id_x 1
		.amdhsa_system_sgpr_workgroup_id_y 1
		.amdhsa_system_sgpr_workgroup_id_z 0
		.amdhsa_system_sgpr_workgroup_info 0
		.amdhsa_system_vgpr_workitem_id 1
		.amdhsa_next_free_vgpr 46
		.amdhsa_next_free_sgpr 38
		.amdhsa_accum_offset 48
		.amdhsa_reserve_vcc 1
		.amdhsa_float_round_mode_32 0
		.amdhsa_float_round_mode_16_64 0
		.amdhsa_float_denorm_mode_32 3
		.amdhsa_float_denorm_mode_16_64 3
		.amdhsa_dx10_clamp 1
		.amdhsa_ieee_mode 1
		.amdhsa_fp16_overflow 0
		.amdhsa_tg_split 0
		.amdhsa_exception_fp_ieee_invalid_op 0
		.amdhsa_exception_fp_denorm_src 0
		.amdhsa_exception_fp_ieee_div_zero 0
		.amdhsa_exception_fp_ieee_overflow 0
		.amdhsa_exception_fp_ieee_underflow 0
		.amdhsa_exception_fp_ieee_inexact 0
		.amdhsa_exception_int_div_zero 0
	.end_amdhsa_kernel
	.section	.text._ZN9rocsparseL31bsrmm_large_blockdim_kernel_extILj8ELj8ELj2Eli21rocsparse_complex_numIdES2_S2_S2_EEvb20rocsparse_direction_T3_S4_llNS_24const_host_device_scalarIT7_EEPKT2_PKS4_PKT4_S4_PKT5_llS7_PT6_ll16rocsparse_order_21rocsparse_index_base_b,"axG",@progbits,_ZN9rocsparseL31bsrmm_large_blockdim_kernel_extILj8ELj8ELj2Eli21rocsparse_complex_numIdES2_S2_S2_EEvb20rocsparse_direction_T3_S4_llNS_24const_host_device_scalarIT7_EEPKT2_PKS4_PKT4_S4_PKT5_llS7_PT6_ll16rocsparse_order_21rocsparse_index_base_b,comdat
.Lfunc_end40:
	.size	_ZN9rocsparseL31bsrmm_large_blockdim_kernel_extILj8ELj8ELj2Eli21rocsparse_complex_numIdES2_S2_S2_EEvb20rocsparse_direction_T3_S4_llNS_24const_host_device_scalarIT7_EEPKT2_PKS4_PKT4_S4_PKT5_llS7_PT6_ll16rocsparse_order_21rocsparse_index_base_b, .Lfunc_end40-_ZN9rocsparseL31bsrmm_large_blockdim_kernel_extILj8ELj8ELj2Eli21rocsparse_complex_numIdES2_S2_S2_EEvb20rocsparse_direction_T3_S4_llNS_24const_host_device_scalarIT7_EEPKT2_PKS4_PKT4_S4_PKT5_llS7_PT6_ll16rocsparse_order_21rocsparse_index_base_b
                                        ; -- End function
	.set _ZN9rocsparseL31bsrmm_large_blockdim_kernel_extILj8ELj8ELj2Eli21rocsparse_complex_numIdES2_S2_S2_EEvb20rocsparse_direction_T3_S4_llNS_24const_host_device_scalarIT7_EEPKT2_PKS4_PKT4_S4_PKT5_llS7_PT6_ll16rocsparse_order_21rocsparse_index_base_b.num_vgpr, 46
	.set _ZN9rocsparseL31bsrmm_large_blockdim_kernel_extILj8ELj8ELj2Eli21rocsparse_complex_numIdES2_S2_S2_EEvb20rocsparse_direction_T3_S4_llNS_24const_host_device_scalarIT7_EEPKT2_PKS4_PKT4_S4_PKT5_llS7_PT6_ll16rocsparse_order_21rocsparse_index_base_b.num_agpr, 0
	.set _ZN9rocsparseL31bsrmm_large_blockdim_kernel_extILj8ELj8ELj2Eli21rocsparse_complex_numIdES2_S2_S2_EEvb20rocsparse_direction_T3_S4_llNS_24const_host_device_scalarIT7_EEPKT2_PKS4_PKT4_S4_PKT5_llS7_PT6_ll16rocsparse_order_21rocsparse_index_base_b.numbered_sgpr, 38
	.set _ZN9rocsparseL31bsrmm_large_blockdim_kernel_extILj8ELj8ELj2Eli21rocsparse_complex_numIdES2_S2_S2_EEvb20rocsparse_direction_T3_S4_llNS_24const_host_device_scalarIT7_EEPKT2_PKS4_PKT4_S4_PKT5_llS7_PT6_ll16rocsparse_order_21rocsparse_index_base_b.num_named_barrier, 0
	.set _ZN9rocsparseL31bsrmm_large_blockdim_kernel_extILj8ELj8ELj2Eli21rocsparse_complex_numIdES2_S2_S2_EEvb20rocsparse_direction_T3_S4_llNS_24const_host_device_scalarIT7_EEPKT2_PKS4_PKT4_S4_PKT5_llS7_PT6_ll16rocsparse_order_21rocsparse_index_base_b.private_seg_size, 0
	.set _ZN9rocsparseL31bsrmm_large_blockdim_kernel_extILj8ELj8ELj2Eli21rocsparse_complex_numIdES2_S2_S2_EEvb20rocsparse_direction_T3_S4_llNS_24const_host_device_scalarIT7_EEPKT2_PKS4_PKT4_S4_PKT5_llS7_PT6_ll16rocsparse_order_21rocsparse_index_base_b.uses_vcc, 1
	.set _ZN9rocsparseL31bsrmm_large_blockdim_kernel_extILj8ELj8ELj2Eli21rocsparse_complex_numIdES2_S2_S2_EEvb20rocsparse_direction_T3_S4_llNS_24const_host_device_scalarIT7_EEPKT2_PKS4_PKT4_S4_PKT5_llS7_PT6_ll16rocsparse_order_21rocsparse_index_base_b.uses_flat_scratch, 0
	.set _ZN9rocsparseL31bsrmm_large_blockdim_kernel_extILj8ELj8ELj2Eli21rocsparse_complex_numIdES2_S2_S2_EEvb20rocsparse_direction_T3_S4_llNS_24const_host_device_scalarIT7_EEPKT2_PKS4_PKT4_S4_PKT5_llS7_PT6_ll16rocsparse_order_21rocsparse_index_base_b.has_dyn_sized_stack, 0
	.set _ZN9rocsparseL31bsrmm_large_blockdim_kernel_extILj8ELj8ELj2Eli21rocsparse_complex_numIdES2_S2_S2_EEvb20rocsparse_direction_T3_S4_llNS_24const_host_device_scalarIT7_EEPKT2_PKS4_PKT4_S4_PKT5_llS7_PT6_ll16rocsparse_order_21rocsparse_index_base_b.has_recursion, 0
	.set _ZN9rocsparseL31bsrmm_large_blockdim_kernel_extILj8ELj8ELj2Eli21rocsparse_complex_numIdES2_S2_S2_EEvb20rocsparse_direction_T3_S4_llNS_24const_host_device_scalarIT7_EEPKT2_PKS4_PKT4_S4_PKT5_llS7_PT6_ll16rocsparse_order_21rocsparse_index_base_b.has_indirect_call, 0
	.section	.AMDGPU.csdata,"",@progbits
; Kernel info:
; codeLenInByte = 1968
; TotalNumSgprs: 44
; NumVgprs: 46
; NumAgprs: 0
; TotalNumVgprs: 46
; ScratchSize: 0
; MemoryBound: 0
; FloatMode: 240
; IeeeMode: 1
; LDSByteSize: 3072 bytes/workgroup (compile time only)
; SGPRBlocks: 5
; VGPRBlocks: 5
; NumSGPRsForWavesPerEU: 44
; NumVGPRsForWavesPerEU: 46
; AccumOffset: 48
; Occupancy: 8
; WaveLimiterHint : 0
; COMPUTE_PGM_RSRC2:SCRATCH_EN: 0
; COMPUTE_PGM_RSRC2:USER_SGPR: 2
; COMPUTE_PGM_RSRC2:TRAP_HANDLER: 0
; COMPUTE_PGM_RSRC2:TGID_X_EN: 1
; COMPUTE_PGM_RSRC2:TGID_Y_EN: 1
; COMPUTE_PGM_RSRC2:TGID_Z_EN: 0
; COMPUTE_PGM_RSRC2:TIDIG_COMP_CNT: 1
; COMPUTE_PGM_RSRC3_GFX90A:ACCUM_OFFSET: 11
; COMPUTE_PGM_RSRC3_GFX90A:TG_SPLIT: 0
	.section	.text._ZN9rocsparseL31bsrmm_large_blockdim_kernel_extILj4ELj16ELj2Eli21rocsparse_complex_numIdES2_S2_S2_EEvb20rocsparse_direction_T3_S4_llNS_24const_host_device_scalarIT7_EEPKT2_PKS4_PKT4_S4_PKT5_llS7_PT6_ll16rocsparse_order_21rocsparse_index_base_b,"axG",@progbits,_ZN9rocsparseL31bsrmm_large_blockdim_kernel_extILj4ELj16ELj2Eli21rocsparse_complex_numIdES2_S2_S2_EEvb20rocsparse_direction_T3_S4_llNS_24const_host_device_scalarIT7_EEPKT2_PKS4_PKT4_S4_PKT5_llS7_PT6_ll16rocsparse_order_21rocsparse_index_base_b,comdat
	.globl	_ZN9rocsparseL31bsrmm_large_blockdim_kernel_extILj4ELj16ELj2Eli21rocsparse_complex_numIdES2_S2_S2_EEvb20rocsparse_direction_T3_S4_llNS_24const_host_device_scalarIT7_EEPKT2_PKS4_PKT4_S4_PKT5_llS7_PT6_ll16rocsparse_order_21rocsparse_index_base_b ; -- Begin function _ZN9rocsparseL31bsrmm_large_blockdim_kernel_extILj4ELj16ELj2Eli21rocsparse_complex_numIdES2_S2_S2_EEvb20rocsparse_direction_T3_S4_llNS_24const_host_device_scalarIT7_EEPKT2_PKS4_PKT4_S4_PKT5_llS7_PT6_ll16rocsparse_order_21rocsparse_index_base_b
	.p2align	8
	.type	_ZN9rocsparseL31bsrmm_large_blockdim_kernel_extILj4ELj16ELj2Eli21rocsparse_complex_numIdES2_S2_S2_EEvb20rocsparse_direction_T3_S4_llNS_24const_host_device_scalarIT7_EEPKT2_PKS4_PKT4_S4_PKT5_llS7_PT6_ll16rocsparse_order_21rocsparse_index_base_b,@function
_ZN9rocsparseL31bsrmm_large_blockdim_kernel_extILj4ELj16ELj2Eli21rocsparse_complex_numIdES2_S2_S2_EEvb20rocsparse_direction_T3_S4_llNS_24const_host_device_scalarIT7_EEPKT2_PKS4_PKT4_S4_PKT5_llS7_PT6_ll16rocsparse_order_21rocsparse_index_base_b: ; @_ZN9rocsparseL31bsrmm_large_blockdim_kernel_extILj4ELj16ELj2Eli21rocsparse_complex_numIdES2_S2_S2_EEvb20rocsparse_direction_T3_S4_llNS_24const_host_device_scalarIT7_EEPKT2_PKS4_PKT4_S4_PKT5_llS7_PT6_ll16rocsparse_order_21rocsparse_index_base_b
; %bb.0:
	s_load_dwordx2 s[6:7], s[0:1], 0x20
	s_load_dwordx4 s[16:19], s[0:1], 0x90
	s_mov_b32 s4, s3
	s_add_u32 s3, s0, 32
	s_addc_u32 s5, s1, 0
	s_add_u32 s10, s0, 0x68
	s_load_dwordx2 s[8:9], s[0:1], 0x68
	s_addc_u32 s11, s1, 0
	s_waitcnt lgkmcnt(0)
	s_bitcmp1_b32 s18, 0
	s_cselect_b32 s5, s5, s7
	s_cselect_b32 s3, s3, s6
	v_mov_b32_e32 v2, s3
	v_mov_b32_e32 v3, s5
	flat_load_dwordx4 v[2:5], v[2:3]
	s_cselect_b32 s3, s11, s9
	s_cselect_b32 s5, s10, s8
	v_mov_b32_e32 v6, s5
	v_mov_b32_e32 v7, s3
	flat_load_dwordx4 v[6:9], v[6:7]
	s_waitcnt vmcnt(0) lgkmcnt(0)
	v_cmp_eq_f64_e32 vcc, 0, v[2:3]
	v_cmp_eq_f64_e64 s[6:7], 0, v[4:5]
	s_and_b64 s[10:11], vcc, s[6:7]
	s_mov_b64 s[6:7], -1
	s_and_saveexec_b64 s[8:9], s[10:11]
; %bb.1:
	v_cmp_neq_f64_e32 vcc, 1.0, v[6:7]
	v_cmp_neq_f64_e64 s[6:7], 0, v[8:9]
	s_or_b64 s[6:7], vcc, s[6:7]
	s_orn2_b64 s[6:7], s[6:7], exec
; %bb.2:
	s_or_b64 exec, exec, s[8:9]
	s_and_saveexec_b64 s[8:9], s[6:7]
	s_cbranch_execz .LBB41_48
; %bb.3:
	s_load_dwordx4 s[12:15], s[0:1], 0x0
	s_load_dwordx2 s[6:7], s[0:1], 0x30
	s_mov_b64 s[30:31], 0
	s_mov_b64 s[34:35], 0
	s_waitcnt lgkmcnt(0)
	s_cmp_lt_i32 s2, s14
	s_cselect_b64 s[18:19], -1, 0
	s_cmp_ge_i32 s2, s14
	s_cbranch_scc1 .LBB41_5
; %bb.4:
	s_ashr_i32 s3, s2, 31
	s_lshl_b64 s[8:9], s[2:3], 3
	s_add_u32 s8, s6, s8
	s_addc_u32 s9, s7, s9
	s_load_dwordx2 s[8:9], s[8:9], 0x0
	s_waitcnt lgkmcnt(0)
	s_sub_u32 s34, s8, s17
	s_subb_u32 s35, s9, 0
.LBB41_5:
	s_andn2_b64 vcc, exec, s[18:19]
	s_cbranch_vccnz .LBB41_7
; %bb.6:
	s_ashr_i32 s3, s2, 31
	s_lshl_b64 s[8:9], s[2:3], 3
	s_add_u32 s6, s6, s8
	s_addc_u32 s7, s7, s9
	s_load_dwordx2 s[6:7], s[6:7], 0x8
	s_waitcnt lgkmcnt(0)
	s_sub_u32 s30, s6, s17
	s_subb_u32 s31, s7, 0
.LBB41_7:
	s_load_dwordx2 s[28:29], s[0:1], 0x78
	s_load_dword s3, s[0:1], 0x48
	v_bfe_u32 v10, v0, 10, 10
	v_lshl_add_u32 v20, s4, 5, v10
	v_and_b32_e32 v30, 0x3ff, v0
	v_mov_b64_e32 v[0:1], s[30:31]
	v_add_u32_e32 v14, 16, v20
	v_cmp_ge_i64_e32 vcc, s[34:35], v[0:1]
	s_waitcnt lgkmcnt(0)
	v_cmp_gt_i32_e64 s[4:5], s3, v30
	v_mov_b64_e32 v[0:1], 0
	s_and_b64 vcc, exec, vcc
	v_cmp_gt_i32_e64 s[6:7], s15, v20
	v_cmp_gt_i32_e64 s[8:9], s15, v14
	v_mov_b64_e32 v[12:13], 0
	v_mov_b64_e32 v[16:17], 0
	;; [unrolled: 1-line block ×3, first 2 shown]
	s_cbranch_vccnz .LBB41_25
; %bb.8:
	s_load_dwordx4 s[20:23], s[0:1], 0x38
	s_load_dwordx4 s[24:27], s[0:1], 0x50
	v_cmp_gt_i32_e32 vcc, s3, v10
	v_lshlrev_b32_e32 v0, 4, v10
	v_lshlrev_b32_e32 v31, 6, v10
	v_mul_lo_u32 v10, s3, v10
	v_mov_b32_e32 v11, 0
	s_and_b64 s[36:37], s[4:5], vcc
	v_lshlrev_b32_e32 v12, 4, v30
	s_waitcnt lgkmcnt(0)
	v_lshl_add_u64 v[16:17], v[10:11], 4, s[22:23]
	v_mov_b32_e32 v13, v11
	v_mov_b32_e32 v1, 0x800
	v_mul_lo_u32 v10, s3, v30
	s_bitcmp1_b32 s12, 0
	v_add_u32_e32 v32, v31, v12
	v_lshl_add_u64 v[12:13], v[16:17], 0, v[12:13]
	v_lshl_add_u32 v33, v30, 6, v1
	v_lshl_add_u64 v[16:17], v[10:11], 4, s[22:23]
	v_mov_b32_e32 v1, v11
	v_ashrrev_i32_e32 v21, 31, v20
	s_cselect_b64 s[10:11], -1, 0
	s_cmp_eq_u32 s13, 0
	v_add_u32_e32 v34, v33, v0
	v_lshl_add_u64 v[0:1], v[16:17], 0, v[0:1]
	v_mul_lo_u32 v15, s27, v20
	v_mul_lo_u32 v16, s26, v21
	v_mad_u64_u32 v[10:11], s[12:13], s26, v20, 0
	v_add3_u32 v11, v11, v16, v15
	v_ashrrev_i32_e32 v15, 31, v14
	v_mul_lo_u32 v16, s27, v14
	v_mul_lo_u32 v17, s26, v15
	v_mad_u64_u32 v[22:23], s[12:13], s26, v14, 0
	s_cselect_b64 vcc, -1, 0
	s_mul_i32 s14, s3, s3
	v_add_u32_e32 v35, 0x400, v32
	v_add3_u32 v23, v23, v17, v16
	v_cndmask_b32_e32 v25, v13, v1, vcc
	v_cndmask_b32_e32 v24, v12, v0, vcc
	v_add_u32_e32 v36, 0x400, v31
	v_mov_b64_e32 v[18:19], 0
	v_mov_b64_e32 v[16:17], 0
	;; [unrolled: 1-line block ×4, first 2 shown]
	s_branch .LBB41_11
.LBB41_9:                               ;   in Loop: Header=BB41_11 Depth=1
	s_or_b64 exec, exec, s[22:23]
.LBB41_10:                              ;   in Loop: Header=BB41_11 Depth=1
	s_or_b64 exec, exec, s[12:13]
	s_add_u32 s34, s34, 1
	s_addc_u32 s35, s35, 0
	v_mov_b64_e32 v[26:27], s[30:31]
	v_cmp_ge_i64_e32 vcc, s[34:35], v[26:27]
	; wave barrier
	s_cbranch_vccnz .LBB41_25
.LBB41_11:                              ; =>This Loop Header: Depth=1
                                        ;     Child Loop BB41_21 Depth 2
                                        ;     Child Loop BB41_24 Depth 2
	s_and_saveexec_b64 s[12:13], s[4:5]
	s_cbranch_execz .LBB41_16
; %bb.12:                               ;   in Loop: Header=BB41_11 Depth=1
	s_lshl_b64 s[22:23], s[34:35], 2
	s_add_u32 s22, s20, s22
	s_addc_u32 s23, s21, s23
	s_load_dword s22, s[22:23], 0x0
	s_waitcnt lgkmcnt(0)
	s_sub_i32 s22, s22, s17
	s_mul_i32 s22, s22, s3
	v_add_u32_e32 v28, s22, v30
	v_ashrrev_i32_e32 v29, 31, v28
	v_mul_lo_u32 v37, s27, v28
	v_mad_u64_u32 v[26:27], s[22:23], s26, v28, 0
	v_mul_lo_u32 v38, s26, v29
	v_add3_u32 v27, v27, v38, v37
	v_lshl_add_u64 v[26:27], v[26:27], 4, s[24:25]
	v_lshl_add_u64 v[28:29], v[28:29], 4, s[24:25]
	s_and_saveexec_b64 s[22:23], s[6:7]
	s_cbranch_execz .LBB41_14
; %bb.13:                               ;   in Loop: Header=BB41_11 Depth=1
	v_lshl_add_u64 v[38:39], v[10:11], 4, v[28:29]
	v_lshl_add_u64 v[40:41], v[20:21], 4, v[26:27]
	v_cndmask_b32_e64 v39, v41, v39, s[10:11]
	v_cndmask_b32_e64 v38, v40, v38, s[10:11]
	global_load_dwordx4 v[38:41], v[38:39], off
	s_waitcnt vmcnt(0)
	ds_write2_b64 v32, v[38:39], v[40:41] offset1:1
.LBB41_14:                              ;   in Loop: Header=BB41_11 Depth=1
	s_or_b64 exec, exec, s[22:23]
	s_and_b64 exec, exec, s[8:9]
	s_cbranch_execz .LBB41_16
; %bb.15:                               ;   in Loop: Header=BB41_11 Depth=1
	v_lshl_add_u64 v[28:29], v[22:23], 4, v[28:29]
	v_lshl_add_u64 v[26:27], v[14:15], 4, v[26:27]
	v_cndmask_b32_e64 v27, v27, v29, s[10:11]
	v_cndmask_b32_e64 v26, v26, v28, s[10:11]
	global_load_dwordx4 v[26:29], v[26:27], off
	s_waitcnt vmcnt(0)
	ds_write2_b64 v35, v[26:27], v[28:29] offset1:1
.LBB41_16:                              ;   in Loop: Header=BB41_11 Depth=1
	s_or_b64 exec, exec, s[12:13]
	s_and_saveexec_b64 s[12:13], s[36:37]
	s_cbranch_execz .LBB41_18
; %bb.17:                               ;   in Loop: Header=BB41_11 Depth=1
	s_mul_i32 s22, s35, s14
	s_mul_hi_u32 s23, s34, s14
	s_add_i32 s23, s23, s22
	s_mul_i32 s22, s34, s14
	v_lshl_add_u64 v[26:27], s[22:23], 4, v[24:25]
	global_load_dwordx4 v[26:29], v[26:27], off
	s_waitcnt vmcnt(0)
	ds_write2_b64 v34, v[26:27], v[28:29] offset1:1
.LBB41_18:                              ;   in Loop: Header=BB41_11 Depth=1
	s_or_b64 exec, exec, s[12:13]
	s_waitcnt lgkmcnt(0)
	; wave barrier
	s_and_saveexec_b64 s[12:13], s[4:5]
	s_cbranch_execz .LBB41_10
; %bb.19:                               ;   in Loop: Header=BB41_11 Depth=1
	s_and_saveexec_b64 s[22:23], s[6:7]
	s_cbranch_execz .LBB41_22
; %bb.20:                               ;   in Loop: Header=BB41_11 Depth=1
	v_mov_b32_e32 v26, v33
	v_mov_b32_e32 v27, v31
	s_mov_b32 s33, s3
.LBB41_21:                              ;   Parent Loop BB41_11 Depth=1
                                        ; =>  This Inner Loop Header: Depth=2
	ds_read_b128 v[38:41], v26
	ds_read_b128 v[42:45], v27
	s_add_i32 s33, s33, -1
	v_add_u32_e32 v27, 16, v27
	v_add_u32_e32 v26, 16, v26
	s_cmp_lg_u32 s33, 0
	s_waitcnt lgkmcnt(0)
	v_fmac_f64_e32 v[0:1], v[38:39], v[42:43]
	v_fmac_f64_e32 v[12:13], v[40:41], v[42:43]
	v_fma_f64 v[0:1], -v[40:41], v[44:45], v[0:1]
	v_fmac_f64_e32 v[12:13], v[38:39], v[44:45]
	s_cbranch_scc1 .LBB41_21
.LBB41_22:                              ;   in Loop: Header=BB41_11 Depth=1
	s_or_b64 exec, exec, s[22:23]
	s_and_saveexec_b64 s[22:23], s[8:9]
	s_cbranch_execz .LBB41_9
; %bb.23:                               ;   in Loop: Header=BB41_11 Depth=1
	v_mov_b32_e32 v26, v33
	s_mov_b32 s33, s3
	v_mov_b32_e32 v27, v36
.LBB41_24:                              ;   Parent Loop BB41_11 Depth=1
                                        ; =>  This Inner Loop Header: Depth=2
	ds_read_b128 v[38:41], v26
	ds_read_b128 v[42:45], v27
	s_add_i32 s33, s33, -1
	v_add_u32_e32 v27, 16, v27
	v_add_u32_e32 v26, 16, v26
	s_cmp_lg_u32 s33, 0
	s_waitcnt lgkmcnt(0)
	v_fmac_f64_e32 v[16:17], v[38:39], v[42:43]
	v_fmac_f64_e32 v[18:19], v[40:41], v[42:43]
	v_fma_f64 v[16:17], -v[40:41], v[44:45], v[16:17]
	v_fmac_f64_e32 v[18:19], v[38:39], v[44:45]
	s_cbranch_scc1 .LBB41_24
	s_branch .LBB41_9
.LBB41_25:
	s_and_b64 s[4:5], s[18:19], s[4:5]
	s_and_b64 exec, exec, s[4:5]
	s_cbranch_execz .LBB41_48
; %bb.26:
	s_mul_i32 s2, s3, s2
	v_add_u32_e32 v10, s2, v30
	s_load_dwordx2 s[2:3], s[0:1], 0x80
	v_cmp_neq_f64_e32 vcc, 0, v[6:7]
	v_cmp_neq_f64_e64 s[0:1], 0, v[8:9]
	v_ashrrev_i32_e32 v11, 31, v10
	s_or_b64 s[4:5], vcc, s[0:1]
	s_waitcnt lgkmcnt(0)
	v_mul_lo_u32 v15, s2, v11
	v_mul_lo_u32 v21, s3, v10
	v_mad_u64_u32 v[22:23], s[6:7], s2, v10, 0
	s_cmp_lg_u32 s16, 1
	v_add3_u32 v23, v23, v15, v21
	s_cselect_b64 s[0:1], -1, 0
	v_lshl_add_u64 v[24:25], v[22:23], 4, s[28:29]
	v_lshl_add_u64 v[22:23], v[10:11], 4, s[28:29]
	v_cmp_gt_i32_e32 vcc, s15, v20
	s_and_saveexec_b64 s[6:7], vcc
	s_cbranch_execz .LBB41_37
; %bb.27:
	v_ashrrev_i32_e32 v21, 31, v20
	s_and_saveexec_b64 s[8:9], s[4:5]
	s_xor_b64 s[8:9], exec, s[8:9]
	s_cbranch_execz .LBB41_32
; %bb.28:
	s_mov_b64 s[10:11], -1
	s_and_b64 vcc, exec, s[0:1]
	s_cbranch_vccz .LBB41_30
; %bb.29:
	v_lshl_add_u64 v[10:11], v[20:21], 4, v[24:25]
	global_load_dwordx4 v[26:29], v[10:11], off
	v_mul_f64 v[30:31], v[12:13], -v[4:5]
	v_mul_f64 v[32:33], v[2:3], v[12:13]
	v_fmac_f64_e32 v[30:31], v[2:3], v[0:1]
	v_fmac_f64_e32 v[32:33], v[4:5], v[0:1]
	s_mov_b64 s[10:11], 0
	s_waitcnt vmcnt(0)
	v_fmac_f64_e32 v[30:31], v[6:7], v[26:27]
	v_fmac_f64_e32 v[32:33], v[8:9], v[26:27]
	v_fma_f64 v[30:31], -v[8:9], v[28:29], v[30:31]
	v_fmac_f64_e32 v[32:33], v[6:7], v[28:29]
	global_store_dwordx4 v[10:11], v[30:33], off
.LBB41_30:
	s_andn2_b64 vcc, exec, s[10:11]
	s_cbranch_vccnz .LBB41_32
; %bb.31:
	v_mul_lo_u32 v15, s3, v20
	v_mul_lo_u32 v21, s2, v21
	v_mad_u64_u32 v[10:11], s[10:11], s2, v20, 0
	v_add3_u32 v11, v11, v21, v15
	v_lshl_add_u64 v[20:21], v[10:11], 4, v[22:23]
	global_load_dwordx4 v[26:29], v[20:21], off
	v_mul_f64 v[10:11], v[12:13], -v[4:5]
	v_mul_f64 v[12:13], v[2:3], v[12:13]
	v_fmac_f64_e32 v[10:11], v[2:3], v[0:1]
	v_fmac_f64_e32 v[12:13], v[4:5], v[0:1]
                                        ; implicit-def: $vgpr0_vgpr1
	s_waitcnt vmcnt(0)
	v_fmac_f64_e32 v[10:11], v[6:7], v[26:27]
	v_fmac_f64_e32 v[12:13], v[8:9], v[26:27]
	v_fma_f64 v[10:11], -v[8:9], v[28:29], v[10:11]
	v_fmac_f64_e32 v[12:13], v[6:7], v[28:29]
	global_store_dwordx4 v[20:21], v[10:13], off
                                        ; implicit-def: $vgpr12_vgpr13
                                        ; implicit-def: $vgpr20
.LBB41_32:
	s_andn2_saveexec_b64 s[8:9], s[8:9]
	s_cbranch_execz .LBB41_37
; %bb.33:
	v_mul_f64 v[10:11], v[12:13], -v[4:5]
	v_mul_f64 v[12:13], v[2:3], v[12:13]
	v_fmac_f64_e32 v[10:11], v[2:3], v[0:1]
	v_fmac_f64_e32 v[12:13], v[4:5], v[0:1]
	s_mov_b64 s[8:9], -1
	s_and_b64 vcc, exec, s[0:1]
	s_cbranch_vccz .LBB41_35
; %bb.34:
	v_lshl_add_u64 v[0:1], v[20:21], 4, v[24:25]
	global_store_dwordx4 v[0:1], v[10:13], off
	s_mov_b64 s[8:9], 0
.LBB41_35:
	s_andn2_b64 vcc, exec, s[8:9]
	s_cbranch_vccnz .LBB41_37
; %bb.36:
	v_mul_lo_u32 v15, s3, v20
	v_mul_lo_u32 v21, s2, v21
	v_mad_u64_u32 v[0:1], s[8:9], s2, v20, 0
	v_add3_u32 v1, v1, v21, v15
	v_lshl_add_u64 v[0:1], v[0:1], 4, v[22:23]
	global_store_dwordx4 v[0:1], v[10:13], off
.LBB41_37:
	s_or_b64 exec, exec, s[6:7]
	v_cmp_gt_i32_e32 vcc, s15, v14
	s_and_b64 exec, exec, vcc
	s_cbranch_execz .LBB41_48
; %bb.38:
	v_cndmask_b32_e64 v0, 0, 1, s[0:1]
	v_ashrrev_i32_e32 v15, 31, v14
	v_cmp_ne_u32_e64 s[0:1], 1, v0
	s_and_saveexec_b64 s[6:7], s[4:5]
	s_xor_b64 s[4:5], exec, s[6:7]
	s_cbranch_execz .LBB41_43
; %bb.39:
	s_and_b64 vcc, exec, s[0:1]
	s_mov_b64 s[6:7], -1
	s_cbranch_vccnz .LBB41_41
; %bb.40:
	v_lshl_add_u64 v[0:1], v[14:15], 4, v[24:25]
	global_load_dwordx4 v[10:13], v[0:1], off
	v_mul_f64 v[20:21], v[18:19], -v[4:5]
	v_mul_f64 v[26:27], v[2:3], v[18:19]
	v_fmac_f64_e32 v[20:21], v[2:3], v[16:17]
	v_fmac_f64_e32 v[26:27], v[4:5], v[16:17]
	s_mov_b64 s[6:7], 0
	s_waitcnt vmcnt(0)
	v_fmac_f64_e32 v[20:21], v[6:7], v[10:11]
	v_fmac_f64_e32 v[26:27], v[8:9], v[10:11]
	v_fma_f64 v[24:25], -v[8:9], v[12:13], v[20:21]
	v_fmac_f64_e32 v[26:27], v[6:7], v[12:13]
	global_store_dwordx4 v[0:1], v[24:27], off
.LBB41_41:
	s_andn2_b64 vcc, exec, s[6:7]
                                        ; implicit-def: $vgpr24_vgpr25
	s_cbranch_vccnz .LBB41_43
; %bb.42:
	v_mul_lo_u32 v10, s3, v14
	v_mul_lo_u32 v11, s2, v15
	v_mad_u64_u32 v[0:1], s[6:7], s2, v14, 0
	v_add3_u32 v1, v1, v11, v10
	v_lshl_add_u64 v[0:1], v[0:1], 4, v[22:23]
	global_load_dwordx4 v[10:13], v[0:1], off
	v_mul_f64 v[14:15], v[18:19], -v[4:5]
	v_mul_f64 v[18:19], v[2:3], v[18:19]
	v_fmac_f64_e32 v[14:15], v[2:3], v[16:17]
	v_fmac_f64_e32 v[18:19], v[4:5], v[16:17]
                                        ; implicit-def: $vgpr22_vgpr23
                                        ; implicit-def: $vgpr4_vgpr5
                                        ; implicit-def: $vgpr24_vgpr25
	s_waitcnt vmcnt(0)
	v_fmac_f64_e32 v[14:15], v[6:7], v[10:11]
	v_fmac_f64_e32 v[18:19], v[8:9], v[10:11]
	v_fma_f64 v[16:17], -v[8:9], v[12:13], v[14:15]
	v_fmac_f64_e32 v[18:19], v[6:7], v[12:13]
	global_store_dwordx4 v[0:1], v[16:19], off
                                        ; implicit-def: $vgpr18_vgpr19
                                        ; implicit-def: $vgpr16_vgpr17
                                        ; implicit-def: $vgpr14
.LBB41_43:
	s_andn2_saveexec_b64 s[4:5], s[4:5]
	s_cbranch_execz .LBB41_48
; %bb.44:
	v_mul_f64 v[0:1], v[18:19], -v[4:5]
	v_fmac_f64_e32 v[0:1], v[2:3], v[16:17]
	v_mul_f64 v[2:3], v[2:3], v[18:19]
	v_fmac_f64_e32 v[2:3], v[4:5], v[16:17]
	s_and_b64 vcc, exec, s[0:1]
	s_mov_b64 s[0:1], -1
	s_cbranch_vccnz .LBB41_46
; %bb.45:
	v_lshl_add_u64 v[4:5], v[14:15], 4, v[24:25]
	s_mov_b64 s[0:1], 0
	global_store_dwordx4 v[4:5], v[0:3], off
.LBB41_46:
	s_andn2_b64 vcc, exec, s[0:1]
	s_cbranch_vccnz .LBB41_48
; %bb.47:
	v_mul_lo_u32 v6, s3, v14
	v_mul_lo_u32 v7, s2, v15
	v_mad_u64_u32 v[4:5], s[0:1], s2, v14, 0
	v_add3_u32 v5, v5, v7, v6
	v_lshl_add_u64 v[4:5], v[4:5], 4, v[22:23]
	global_store_dwordx4 v[4:5], v[0:3], off
.LBB41_48:
	s_endpgm
	.section	.rodata,"a",@progbits
	.p2align	6, 0x0
	.amdhsa_kernel _ZN9rocsparseL31bsrmm_large_blockdim_kernel_extILj4ELj16ELj2Eli21rocsparse_complex_numIdES2_S2_S2_EEvb20rocsparse_direction_T3_S4_llNS_24const_host_device_scalarIT7_EEPKT2_PKS4_PKT4_S4_PKT5_llS7_PT6_ll16rocsparse_order_21rocsparse_index_base_b
		.amdhsa_group_segment_fixed_size 2304
		.amdhsa_private_segment_fixed_size 0
		.amdhsa_kernarg_size 156
		.amdhsa_user_sgpr_count 2
		.amdhsa_user_sgpr_dispatch_ptr 0
		.amdhsa_user_sgpr_queue_ptr 0
		.amdhsa_user_sgpr_kernarg_segment_ptr 1
		.amdhsa_user_sgpr_dispatch_id 0
		.amdhsa_user_sgpr_kernarg_preload_length 0
		.amdhsa_user_sgpr_kernarg_preload_offset 0
		.amdhsa_user_sgpr_private_segment_size 0
		.amdhsa_uses_dynamic_stack 0
		.amdhsa_enable_private_segment 0
		.amdhsa_system_sgpr_workgroup_id_x 1
		.amdhsa_system_sgpr_workgroup_id_y 1
		.amdhsa_system_sgpr_workgroup_id_z 0
		.amdhsa_system_sgpr_workgroup_info 0
		.amdhsa_system_vgpr_workitem_id 1
		.amdhsa_next_free_vgpr 46
		.amdhsa_next_free_sgpr 38
		.amdhsa_accum_offset 48
		.amdhsa_reserve_vcc 1
		.amdhsa_float_round_mode_32 0
		.amdhsa_float_round_mode_16_64 0
		.amdhsa_float_denorm_mode_32 3
		.amdhsa_float_denorm_mode_16_64 3
		.amdhsa_dx10_clamp 1
		.amdhsa_ieee_mode 1
		.amdhsa_fp16_overflow 0
		.amdhsa_tg_split 0
		.amdhsa_exception_fp_ieee_invalid_op 0
		.amdhsa_exception_fp_denorm_src 0
		.amdhsa_exception_fp_ieee_div_zero 0
		.amdhsa_exception_fp_ieee_overflow 0
		.amdhsa_exception_fp_ieee_underflow 0
		.amdhsa_exception_fp_ieee_inexact 0
		.amdhsa_exception_int_div_zero 0
	.end_amdhsa_kernel
	.section	.text._ZN9rocsparseL31bsrmm_large_blockdim_kernel_extILj4ELj16ELj2Eli21rocsparse_complex_numIdES2_S2_S2_EEvb20rocsparse_direction_T3_S4_llNS_24const_host_device_scalarIT7_EEPKT2_PKS4_PKT4_S4_PKT5_llS7_PT6_ll16rocsparse_order_21rocsparse_index_base_b,"axG",@progbits,_ZN9rocsparseL31bsrmm_large_blockdim_kernel_extILj4ELj16ELj2Eli21rocsparse_complex_numIdES2_S2_S2_EEvb20rocsparse_direction_T3_S4_llNS_24const_host_device_scalarIT7_EEPKT2_PKS4_PKT4_S4_PKT5_llS7_PT6_ll16rocsparse_order_21rocsparse_index_base_b,comdat
.Lfunc_end41:
	.size	_ZN9rocsparseL31bsrmm_large_blockdim_kernel_extILj4ELj16ELj2Eli21rocsparse_complex_numIdES2_S2_S2_EEvb20rocsparse_direction_T3_S4_llNS_24const_host_device_scalarIT7_EEPKT2_PKS4_PKT4_S4_PKT5_llS7_PT6_ll16rocsparse_order_21rocsparse_index_base_b, .Lfunc_end41-_ZN9rocsparseL31bsrmm_large_blockdim_kernel_extILj4ELj16ELj2Eli21rocsparse_complex_numIdES2_S2_S2_EEvb20rocsparse_direction_T3_S4_llNS_24const_host_device_scalarIT7_EEPKT2_PKS4_PKT4_S4_PKT5_llS7_PT6_ll16rocsparse_order_21rocsparse_index_base_b
                                        ; -- End function
	.set _ZN9rocsparseL31bsrmm_large_blockdim_kernel_extILj4ELj16ELj2Eli21rocsparse_complex_numIdES2_S2_S2_EEvb20rocsparse_direction_T3_S4_llNS_24const_host_device_scalarIT7_EEPKT2_PKS4_PKT4_S4_PKT5_llS7_PT6_ll16rocsparse_order_21rocsparse_index_base_b.num_vgpr, 46
	.set _ZN9rocsparseL31bsrmm_large_blockdim_kernel_extILj4ELj16ELj2Eli21rocsparse_complex_numIdES2_S2_S2_EEvb20rocsparse_direction_T3_S4_llNS_24const_host_device_scalarIT7_EEPKT2_PKS4_PKT4_S4_PKT5_llS7_PT6_ll16rocsparse_order_21rocsparse_index_base_b.num_agpr, 0
	.set _ZN9rocsparseL31bsrmm_large_blockdim_kernel_extILj4ELj16ELj2Eli21rocsparse_complex_numIdES2_S2_S2_EEvb20rocsparse_direction_T3_S4_llNS_24const_host_device_scalarIT7_EEPKT2_PKS4_PKT4_S4_PKT5_llS7_PT6_ll16rocsparse_order_21rocsparse_index_base_b.numbered_sgpr, 38
	.set _ZN9rocsparseL31bsrmm_large_blockdim_kernel_extILj4ELj16ELj2Eli21rocsparse_complex_numIdES2_S2_S2_EEvb20rocsparse_direction_T3_S4_llNS_24const_host_device_scalarIT7_EEPKT2_PKS4_PKT4_S4_PKT5_llS7_PT6_ll16rocsparse_order_21rocsparse_index_base_b.num_named_barrier, 0
	.set _ZN9rocsparseL31bsrmm_large_blockdim_kernel_extILj4ELj16ELj2Eli21rocsparse_complex_numIdES2_S2_S2_EEvb20rocsparse_direction_T3_S4_llNS_24const_host_device_scalarIT7_EEPKT2_PKS4_PKT4_S4_PKT5_llS7_PT6_ll16rocsparse_order_21rocsparse_index_base_b.private_seg_size, 0
	.set _ZN9rocsparseL31bsrmm_large_blockdim_kernel_extILj4ELj16ELj2Eli21rocsparse_complex_numIdES2_S2_S2_EEvb20rocsparse_direction_T3_S4_llNS_24const_host_device_scalarIT7_EEPKT2_PKS4_PKT4_S4_PKT5_llS7_PT6_ll16rocsparse_order_21rocsparse_index_base_b.uses_vcc, 1
	.set _ZN9rocsparseL31bsrmm_large_blockdim_kernel_extILj4ELj16ELj2Eli21rocsparse_complex_numIdES2_S2_S2_EEvb20rocsparse_direction_T3_S4_llNS_24const_host_device_scalarIT7_EEPKT2_PKS4_PKT4_S4_PKT5_llS7_PT6_ll16rocsparse_order_21rocsparse_index_base_b.uses_flat_scratch, 0
	.set _ZN9rocsparseL31bsrmm_large_blockdim_kernel_extILj4ELj16ELj2Eli21rocsparse_complex_numIdES2_S2_S2_EEvb20rocsparse_direction_T3_S4_llNS_24const_host_device_scalarIT7_EEPKT2_PKS4_PKT4_S4_PKT5_llS7_PT6_ll16rocsparse_order_21rocsparse_index_base_b.has_dyn_sized_stack, 0
	.set _ZN9rocsparseL31bsrmm_large_blockdim_kernel_extILj4ELj16ELj2Eli21rocsparse_complex_numIdES2_S2_S2_EEvb20rocsparse_direction_T3_S4_llNS_24const_host_device_scalarIT7_EEPKT2_PKS4_PKT4_S4_PKT5_llS7_PT6_ll16rocsparse_order_21rocsparse_index_base_b.has_recursion, 0
	.set _ZN9rocsparseL31bsrmm_large_blockdim_kernel_extILj4ELj16ELj2Eli21rocsparse_complex_numIdES2_S2_S2_EEvb20rocsparse_direction_T3_S4_llNS_24const_host_device_scalarIT7_EEPKT2_PKS4_PKT4_S4_PKT5_llS7_PT6_ll16rocsparse_order_21rocsparse_index_base_b.has_indirect_call, 0
	.section	.AMDGPU.csdata,"",@progbits
; Kernel info:
; codeLenInByte = 1968
; TotalNumSgprs: 44
; NumVgprs: 46
; NumAgprs: 0
; TotalNumVgprs: 46
; ScratchSize: 0
; MemoryBound: 0
; FloatMode: 240
; IeeeMode: 1
; LDSByteSize: 2304 bytes/workgroup (compile time only)
; SGPRBlocks: 5
; VGPRBlocks: 5
; NumSGPRsForWavesPerEU: 44
; NumVGPRsForWavesPerEU: 46
; AccumOffset: 48
; Occupancy: 8
; WaveLimiterHint : 0
; COMPUTE_PGM_RSRC2:SCRATCH_EN: 0
; COMPUTE_PGM_RSRC2:USER_SGPR: 2
; COMPUTE_PGM_RSRC2:TRAP_HANDLER: 0
; COMPUTE_PGM_RSRC2:TGID_X_EN: 1
; COMPUTE_PGM_RSRC2:TGID_Y_EN: 1
; COMPUTE_PGM_RSRC2:TGID_Z_EN: 0
; COMPUTE_PGM_RSRC2:TIDIG_COMP_CNT: 1
; COMPUTE_PGM_RSRC3_GFX90A:ACCUM_OFFSET: 11
; COMPUTE_PGM_RSRC3_GFX90A:TG_SPLIT: 0
	.section	.text._ZN9rocsparseL31bsrmm_large_blockdim_kernel_extILj16ELj16ELj2Eli21rocsparse_complex_numIdES2_S2_S2_EEvb20rocsparse_direction_T3_S4_llNS_24const_host_device_scalarIT7_EEPKT2_PKS4_PKT4_S4_PKT5_llS7_PT6_ll16rocsparse_order_21rocsparse_index_base_b,"axG",@progbits,_ZN9rocsparseL31bsrmm_large_blockdim_kernel_extILj16ELj16ELj2Eli21rocsparse_complex_numIdES2_S2_S2_EEvb20rocsparse_direction_T3_S4_llNS_24const_host_device_scalarIT7_EEPKT2_PKS4_PKT4_S4_PKT5_llS7_PT6_ll16rocsparse_order_21rocsparse_index_base_b,comdat
	.globl	_ZN9rocsparseL31bsrmm_large_blockdim_kernel_extILj16ELj16ELj2Eli21rocsparse_complex_numIdES2_S2_S2_EEvb20rocsparse_direction_T3_S4_llNS_24const_host_device_scalarIT7_EEPKT2_PKS4_PKT4_S4_PKT5_llS7_PT6_ll16rocsparse_order_21rocsparse_index_base_b ; -- Begin function _ZN9rocsparseL31bsrmm_large_blockdim_kernel_extILj16ELj16ELj2Eli21rocsparse_complex_numIdES2_S2_S2_EEvb20rocsparse_direction_T3_S4_llNS_24const_host_device_scalarIT7_EEPKT2_PKS4_PKT4_S4_PKT5_llS7_PT6_ll16rocsparse_order_21rocsparse_index_base_b
	.p2align	8
	.type	_ZN9rocsparseL31bsrmm_large_blockdim_kernel_extILj16ELj16ELj2Eli21rocsparse_complex_numIdES2_S2_S2_EEvb20rocsparse_direction_T3_S4_llNS_24const_host_device_scalarIT7_EEPKT2_PKS4_PKT4_S4_PKT5_llS7_PT6_ll16rocsparse_order_21rocsparse_index_base_b,@function
_ZN9rocsparseL31bsrmm_large_blockdim_kernel_extILj16ELj16ELj2Eli21rocsparse_complex_numIdES2_S2_S2_EEvb20rocsparse_direction_T3_S4_llNS_24const_host_device_scalarIT7_EEPKT2_PKS4_PKT4_S4_PKT5_llS7_PT6_ll16rocsparse_order_21rocsparse_index_base_b: ; @_ZN9rocsparseL31bsrmm_large_blockdim_kernel_extILj16ELj16ELj2Eli21rocsparse_complex_numIdES2_S2_S2_EEvb20rocsparse_direction_T3_S4_llNS_24const_host_device_scalarIT7_EEPKT2_PKS4_PKT4_S4_PKT5_llS7_PT6_ll16rocsparse_order_21rocsparse_index_base_b
; %bb.0:
	s_load_dwordx2 s[6:7], s[0:1], 0x20
	s_load_dwordx4 s[16:19], s[0:1], 0x90
	s_mov_b32 s4, s3
	s_add_u32 s3, s0, 32
	s_addc_u32 s5, s1, 0
	s_add_u32 s10, s0, 0x68
	s_load_dwordx2 s[8:9], s[0:1], 0x68
	s_addc_u32 s11, s1, 0
	s_waitcnt lgkmcnt(0)
	s_bitcmp1_b32 s18, 0
	s_cselect_b32 s5, s5, s7
	s_cselect_b32 s3, s3, s6
	v_mov_b32_e32 v2, s3
	v_mov_b32_e32 v3, s5
	flat_load_dwordx4 v[2:5], v[2:3]
	s_cselect_b32 s3, s11, s9
	s_cselect_b32 s5, s10, s8
	v_mov_b32_e32 v6, s5
	v_mov_b32_e32 v7, s3
	flat_load_dwordx4 v[6:9], v[6:7]
	s_waitcnt vmcnt(0) lgkmcnt(0)
	v_cmp_eq_f64_e32 vcc, 0, v[2:3]
	v_cmp_eq_f64_e64 s[6:7], 0, v[4:5]
	s_and_b64 s[10:11], vcc, s[6:7]
	s_mov_b64 s[6:7], -1
	s_and_saveexec_b64 s[8:9], s[10:11]
; %bb.1:
	v_cmp_neq_f64_e32 vcc, 1.0, v[6:7]
	v_cmp_neq_f64_e64 s[6:7], 0, v[8:9]
	s_or_b64 s[6:7], vcc, s[6:7]
	s_orn2_b64 s[6:7], s[6:7], exec
; %bb.2:
	s_or_b64 exec, exec, s[8:9]
	s_and_saveexec_b64 s[8:9], s[6:7]
	s_cbranch_execz .LBB42_48
; %bb.3:
	s_load_dwordx4 s[12:15], s[0:1], 0x0
	s_load_dwordx2 s[6:7], s[0:1], 0x30
	s_mov_b64 s[36:37], 0
	s_mov_b64 s[30:31], 0
	s_waitcnt lgkmcnt(0)
	s_cmp_lt_i32 s2, s14
	s_cselect_b64 s[18:19], -1, 0
	s_cmp_ge_i32 s2, s14
	s_cbranch_scc1 .LBB42_5
; %bb.4:
	s_ashr_i32 s3, s2, 31
	s_lshl_b64 s[8:9], s[2:3], 3
	s_add_u32 s8, s6, s8
	s_addc_u32 s9, s7, s9
	s_load_dwordx2 s[8:9], s[8:9], 0x0
	s_waitcnt lgkmcnt(0)
	s_sub_u32 s30, s8, s17
	s_subb_u32 s31, s9, 0
.LBB42_5:
	s_andn2_b64 vcc, exec, s[18:19]
	s_cbranch_vccnz .LBB42_7
; %bb.6:
	s_ashr_i32 s3, s2, 31
	s_lshl_b64 s[8:9], s[2:3], 3
	s_add_u32 s6, s6, s8
	s_addc_u32 s7, s7, s9
	s_load_dwordx2 s[6:7], s[6:7], 0x8
	s_waitcnt lgkmcnt(0)
	s_sub_u32 s36, s6, s17
	s_subb_u32 s37, s7, 0
.LBB42_7:
	s_load_dwordx2 s[28:29], s[0:1], 0x78
	s_load_dword s3, s[0:1], 0x48
	v_bfe_u32 v10, v0, 10, 10
	v_lshl_add_u32 v20, s4, 5, v10
	v_and_b32_e32 v32, 0x3ff, v0
	v_mov_b64_e32 v[0:1], s[36:37]
	v_add_u32_e32 v14, 16, v20
	v_cmp_ge_i64_e32 vcc, s[30:31], v[0:1]
	s_waitcnt lgkmcnt(0)
	v_cmp_gt_i32_e64 s[4:5], s3, v32
	v_mov_b64_e32 v[0:1], 0
	s_and_b64 vcc, exec, vcc
	v_cmp_gt_i32_e64 s[6:7], s15, v20
	v_cmp_gt_i32_e64 s[8:9], s15, v14
	v_mov_b64_e32 v[12:13], 0
	v_mov_b64_e32 v[18:19], 0
	;; [unrolled: 1-line block ×3, first 2 shown]
	s_cbranch_vccnz .LBB42_25
; %bb.8:
	s_load_dwordx4 s[20:23], s[0:1], 0x38
	s_load_dwordx4 s[24:27], s[0:1], 0x50
	v_cmp_gt_i32_e32 vcc, s3, v10
	v_lshlrev_b32_e32 v0, 4, v10
	v_lshlrev_b32_e32 v33, 8, v10
	v_mul_lo_u32 v10, s3, v10
	v_mov_b32_e32 v11, 0
	s_and_b64 s[34:35], s[4:5], vcc
	v_lshlrev_b32_e32 v12, 4, v32
	s_waitcnt lgkmcnt(0)
	v_lshl_add_u64 v[16:17], v[10:11], 4, s[22:23]
	v_mov_b32_e32 v13, v11
	v_mov_b32_e32 v1, 0x2000
	v_mul_lo_u32 v10, s3, v32
	s_bitcmp1_b32 s12, 0
	v_add_u32_e32 v34, v33, v12
	v_lshl_add_u64 v[12:13], v[16:17], 0, v[12:13]
	v_lshl_add_u32 v35, v32, 8, v1
	v_lshl_add_u64 v[16:17], v[10:11], 4, s[22:23]
	v_mov_b32_e32 v1, v11
	v_ashrrev_i32_e32 v21, 31, v20
	s_cselect_b64 s[10:11], -1, 0
	s_cmp_eq_u32 s13, 0
	v_add_u32_e32 v36, v35, v0
	v_lshl_add_u64 v[0:1], v[16:17], 0, v[0:1]
	v_mul_lo_u32 v15, s27, v20
	v_mul_lo_u32 v16, s26, v21
	v_mad_u64_u32 v[10:11], s[12:13], s26, v20, 0
	v_add3_u32 v11, v11, v16, v15
	v_ashrrev_i32_e32 v15, 31, v14
	v_mul_lo_u32 v16, s27, v14
	v_mul_lo_u32 v17, s26, v15
	v_mad_u64_u32 v[22:23], s[12:13], s26, v14, 0
	s_cselect_b64 vcc, -1, 0
	s_mul_i32 s14, s3, s3
	v_add_u32_e32 v37, 0x1000, v34
	v_add3_u32 v23, v23, v17, v16
	v_cndmask_b32_e32 v25, v13, v1, vcc
	v_cndmask_b32_e32 v24, v12, v0, vcc
	v_add_u32_e32 v38, 0x1000, v33
	v_mov_b64_e32 v[16:17], 0
	v_mov_b64_e32 v[26:27], s[36:37]
	;; [unrolled: 1-line block ×5, first 2 shown]
	s_branch .LBB42_11
.LBB42_9:                               ;   in Loop: Header=BB42_11 Depth=1
	s_or_b64 exec, exec, s[22:23]
.LBB42_10:                              ;   in Loop: Header=BB42_11 Depth=1
	s_or_b64 exec, exec, s[12:13]
	s_add_u32 s30, s30, 1
	s_addc_u32 s31, s31, 0
	v_cmp_ge_i64_e32 vcc, s[30:31], v[26:27]
	s_barrier
	s_cbranch_vccnz .LBB42_25
.LBB42_11:                              ; =>This Loop Header: Depth=1
                                        ;     Child Loop BB42_21 Depth 2
                                        ;     Child Loop BB42_24 Depth 2
	s_and_saveexec_b64 s[12:13], s[4:5]
	s_cbranch_execz .LBB42_16
; %bb.12:                               ;   in Loop: Header=BB42_11 Depth=1
	s_lshl_b64 s[22:23], s[30:31], 2
	s_add_u32 s22, s20, s22
	s_addc_u32 s23, s21, s23
	s_load_dword s22, s[22:23], 0x0
	s_waitcnt lgkmcnt(0)
	s_sub_i32 s22, s22, s17
	s_mul_i32 s22, s22, s3
	v_add_u32_e32 v30, s22, v32
	v_ashrrev_i32_e32 v31, 31, v30
	v_mul_lo_u32 v39, s27, v30
	v_mad_u64_u32 v[28:29], s[22:23], s26, v30, 0
	v_mul_lo_u32 v40, s26, v31
	v_add3_u32 v29, v29, v40, v39
	v_lshl_add_u64 v[28:29], v[28:29], 4, s[24:25]
	v_lshl_add_u64 v[30:31], v[30:31], 4, s[24:25]
	s_and_saveexec_b64 s[22:23], s[6:7]
	s_cbranch_execz .LBB42_14
; %bb.13:                               ;   in Loop: Header=BB42_11 Depth=1
	v_lshl_add_u64 v[40:41], v[10:11], 4, v[30:31]
	v_lshl_add_u64 v[42:43], v[20:21], 4, v[28:29]
	v_cndmask_b32_e64 v41, v43, v41, s[10:11]
	v_cndmask_b32_e64 v40, v42, v40, s[10:11]
	global_load_dwordx4 v[40:43], v[40:41], off
	s_waitcnt vmcnt(0)
	ds_write2_b64 v34, v[40:41], v[42:43] offset1:1
.LBB42_14:                              ;   in Loop: Header=BB42_11 Depth=1
	s_or_b64 exec, exec, s[22:23]
	s_and_b64 exec, exec, s[8:9]
	s_cbranch_execz .LBB42_16
; %bb.15:                               ;   in Loop: Header=BB42_11 Depth=1
	v_lshl_add_u64 v[30:31], v[22:23], 4, v[30:31]
	v_lshl_add_u64 v[28:29], v[14:15], 4, v[28:29]
	v_cndmask_b32_e64 v29, v29, v31, s[10:11]
	v_cndmask_b32_e64 v28, v28, v30, s[10:11]
	global_load_dwordx4 v[28:31], v[28:29], off
	s_waitcnt vmcnt(0)
	ds_write2_b64 v37, v[28:29], v[30:31] offset1:1
.LBB42_16:                              ;   in Loop: Header=BB42_11 Depth=1
	s_or_b64 exec, exec, s[12:13]
	s_and_saveexec_b64 s[12:13], s[34:35]
	s_cbranch_execz .LBB42_18
; %bb.17:                               ;   in Loop: Header=BB42_11 Depth=1
	s_mul_i32 s22, s31, s14
	s_mul_hi_u32 s23, s30, s14
	s_add_i32 s23, s23, s22
	s_mul_i32 s22, s30, s14
	v_lshl_add_u64 v[28:29], s[22:23], 4, v[24:25]
	global_load_dwordx4 v[28:31], v[28:29], off
	s_waitcnt vmcnt(0)
	ds_write2_b64 v36, v[28:29], v[30:31] offset1:1
.LBB42_18:                              ;   in Loop: Header=BB42_11 Depth=1
	s_or_b64 exec, exec, s[12:13]
	s_waitcnt lgkmcnt(0)
	s_barrier
	s_and_saveexec_b64 s[12:13], s[4:5]
	s_cbranch_execz .LBB42_10
; %bb.19:                               ;   in Loop: Header=BB42_11 Depth=1
	s_and_saveexec_b64 s[22:23], s[6:7]
	s_cbranch_execz .LBB42_22
; %bb.20:                               ;   in Loop: Header=BB42_11 Depth=1
	v_mov_b32_e32 v28, v35
	v_mov_b32_e32 v29, v33
	s_mov_b32 s33, s3
.LBB42_21:                              ;   Parent Loop BB42_11 Depth=1
                                        ; =>  This Inner Loop Header: Depth=2
	ds_read_b128 v[40:43], v28
	ds_read_b128 v[44:47], v29
	s_add_i32 s33, s33, -1
	v_add_u32_e32 v29, 16, v29
	v_add_u32_e32 v28, 16, v28
	s_cmp_lg_u32 s33, 0
	s_waitcnt lgkmcnt(0)
	v_fmac_f64_e32 v[0:1], v[40:41], v[44:45]
	v_fmac_f64_e32 v[12:13], v[42:43], v[44:45]
	v_fma_f64 v[0:1], -v[42:43], v[46:47], v[0:1]
	v_fmac_f64_e32 v[12:13], v[40:41], v[46:47]
	s_cbranch_scc1 .LBB42_21
.LBB42_22:                              ;   in Loop: Header=BB42_11 Depth=1
	s_or_b64 exec, exec, s[22:23]
	s_and_saveexec_b64 s[22:23], s[8:9]
	s_cbranch_execz .LBB42_9
; %bb.23:                               ;   in Loop: Header=BB42_11 Depth=1
	v_mov_b32_e32 v28, v35
	s_mov_b32 s33, s3
	v_mov_b32_e32 v29, v38
.LBB42_24:                              ;   Parent Loop BB42_11 Depth=1
                                        ; =>  This Inner Loop Header: Depth=2
	ds_read_b128 v[40:43], v28
	ds_read_b128 v[44:47], v29
	s_add_i32 s33, s33, -1
	v_add_u32_e32 v29, 16, v29
	v_add_u32_e32 v28, 16, v28
	s_cmp_lg_u32 s33, 0
	s_waitcnt lgkmcnt(0)
	v_fmac_f64_e32 v[18:19], v[40:41], v[44:45]
	v_fmac_f64_e32 v[16:17], v[42:43], v[44:45]
	v_fma_f64 v[18:19], -v[42:43], v[46:47], v[18:19]
	v_fmac_f64_e32 v[16:17], v[40:41], v[46:47]
	s_cbranch_scc1 .LBB42_24
	s_branch .LBB42_9
.LBB42_25:
	s_and_b64 s[4:5], s[18:19], s[4:5]
	s_and_b64 exec, exec, s[4:5]
	s_cbranch_execz .LBB42_48
; %bb.26:
	s_mul_i32 s2, s3, s2
	v_add_u32_e32 v10, s2, v32
	s_load_dwordx2 s[2:3], s[0:1], 0x80
	v_cmp_neq_f64_e32 vcc, 0, v[6:7]
	v_cmp_neq_f64_e64 s[0:1], 0, v[8:9]
	v_ashrrev_i32_e32 v11, 31, v10
	s_or_b64 s[4:5], vcc, s[0:1]
	s_waitcnt lgkmcnt(0)
	v_mul_lo_u32 v15, s2, v11
	v_mul_lo_u32 v21, s3, v10
	v_mad_u64_u32 v[22:23], s[6:7], s2, v10, 0
	s_cmp_lg_u32 s16, 1
	v_add3_u32 v23, v23, v15, v21
	s_cselect_b64 s[0:1], -1, 0
	v_lshl_add_u64 v[24:25], v[22:23], 4, s[28:29]
	v_lshl_add_u64 v[22:23], v[10:11], 4, s[28:29]
	v_cmp_gt_i32_e32 vcc, s15, v20
	s_and_saveexec_b64 s[6:7], vcc
	s_cbranch_execz .LBB42_37
; %bb.27:
	v_ashrrev_i32_e32 v21, 31, v20
	s_and_saveexec_b64 s[8:9], s[4:5]
	s_xor_b64 s[8:9], exec, s[8:9]
	s_cbranch_execz .LBB42_32
; %bb.28:
	s_mov_b64 s[10:11], -1
	s_and_b64 vcc, exec, s[0:1]
	s_cbranch_vccz .LBB42_30
; %bb.29:
	v_lshl_add_u64 v[10:11], v[20:21], 4, v[24:25]
	global_load_dwordx4 v[26:29], v[10:11], off
	v_mul_f64 v[30:31], v[12:13], -v[4:5]
	v_mul_f64 v[32:33], v[2:3], v[12:13]
	v_fmac_f64_e32 v[30:31], v[2:3], v[0:1]
	v_fmac_f64_e32 v[32:33], v[4:5], v[0:1]
	s_mov_b64 s[10:11], 0
	s_waitcnt vmcnt(0)
	v_fmac_f64_e32 v[30:31], v[6:7], v[26:27]
	v_fmac_f64_e32 v[32:33], v[8:9], v[26:27]
	v_fma_f64 v[30:31], -v[8:9], v[28:29], v[30:31]
	v_fmac_f64_e32 v[32:33], v[6:7], v[28:29]
	global_store_dwordx4 v[10:11], v[30:33], off
.LBB42_30:
	s_andn2_b64 vcc, exec, s[10:11]
	s_cbranch_vccnz .LBB42_32
; %bb.31:
	v_mul_lo_u32 v15, s3, v20
	v_mul_lo_u32 v21, s2, v21
	v_mad_u64_u32 v[10:11], s[10:11], s2, v20, 0
	v_add3_u32 v11, v11, v21, v15
	v_lshl_add_u64 v[20:21], v[10:11], 4, v[22:23]
	global_load_dwordx4 v[26:29], v[20:21], off
	v_mul_f64 v[10:11], v[12:13], -v[4:5]
	v_mul_f64 v[12:13], v[2:3], v[12:13]
	v_fmac_f64_e32 v[10:11], v[2:3], v[0:1]
	v_fmac_f64_e32 v[12:13], v[4:5], v[0:1]
                                        ; implicit-def: $vgpr0_vgpr1
	s_waitcnt vmcnt(0)
	v_fmac_f64_e32 v[10:11], v[6:7], v[26:27]
	v_fmac_f64_e32 v[12:13], v[8:9], v[26:27]
	v_fma_f64 v[10:11], -v[8:9], v[28:29], v[10:11]
	v_fmac_f64_e32 v[12:13], v[6:7], v[28:29]
	global_store_dwordx4 v[20:21], v[10:13], off
                                        ; implicit-def: $vgpr12_vgpr13
                                        ; implicit-def: $vgpr20
.LBB42_32:
	s_andn2_saveexec_b64 s[8:9], s[8:9]
	s_cbranch_execz .LBB42_37
; %bb.33:
	v_mul_f64 v[10:11], v[12:13], -v[4:5]
	v_mul_f64 v[12:13], v[2:3], v[12:13]
	v_fmac_f64_e32 v[10:11], v[2:3], v[0:1]
	v_fmac_f64_e32 v[12:13], v[4:5], v[0:1]
	s_mov_b64 s[8:9], -1
	s_and_b64 vcc, exec, s[0:1]
	s_cbranch_vccz .LBB42_35
; %bb.34:
	v_lshl_add_u64 v[0:1], v[20:21], 4, v[24:25]
	global_store_dwordx4 v[0:1], v[10:13], off
	s_mov_b64 s[8:9], 0
.LBB42_35:
	s_andn2_b64 vcc, exec, s[8:9]
	s_cbranch_vccnz .LBB42_37
; %bb.36:
	v_mul_lo_u32 v15, s3, v20
	v_mul_lo_u32 v21, s2, v21
	v_mad_u64_u32 v[0:1], s[8:9], s2, v20, 0
	v_add3_u32 v1, v1, v21, v15
	v_lshl_add_u64 v[0:1], v[0:1], 4, v[22:23]
	global_store_dwordx4 v[0:1], v[10:13], off
.LBB42_37:
	s_or_b64 exec, exec, s[6:7]
	v_cmp_gt_i32_e32 vcc, s15, v14
	s_and_b64 exec, exec, vcc
	s_cbranch_execz .LBB42_48
; %bb.38:
	v_cndmask_b32_e64 v0, 0, 1, s[0:1]
	v_ashrrev_i32_e32 v15, 31, v14
	v_cmp_ne_u32_e64 s[0:1], 1, v0
	s_and_saveexec_b64 s[6:7], s[4:5]
	s_xor_b64 s[4:5], exec, s[6:7]
	s_cbranch_execz .LBB42_43
; %bb.39:
	s_and_b64 vcc, exec, s[0:1]
	s_mov_b64 s[6:7], -1
	s_cbranch_vccnz .LBB42_41
; %bb.40:
	v_lshl_add_u64 v[0:1], v[14:15], 4, v[24:25]
	global_load_dwordx4 v[10:13], v[0:1], off
	v_mul_f64 v[20:21], v[16:17], -v[4:5]
	v_mul_f64 v[26:27], v[2:3], v[16:17]
	v_fmac_f64_e32 v[20:21], v[2:3], v[18:19]
	v_fmac_f64_e32 v[26:27], v[4:5], v[18:19]
	s_mov_b64 s[6:7], 0
	s_waitcnt vmcnt(0)
	v_fmac_f64_e32 v[20:21], v[6:7], v[10:11]
	v_fmac_f64_e32 v[26:27], v[8:9], v[10:11]
	v_fma_f64 v[24:25], -v[8:9], v[12:13], v[20:21]
	v_fmac_f64_e32 v[26:27], v[6:7], v[12:13]
	global_store_dwordx4 v[0:1], v[24:27], off
.LBB42_41:
	s_andn2_b64 vcc, exec, s[6:7]
                                        ; implicit-def: $vgpr24_vgpr25
	s_cbranch_vccnz .LBB42_43
; %bb.42:
	v_mul_lo_u32 v10, s3, v14
	v_mul_lo_u32 v11, s2, v15
	v_mad_u64_u32 v[0:1], s[6:7], s2, v14, 0
	v_add3_u32 v1, v1, v11, v10
	v_lshl_add_u64 v[0:1], v[0:1], 4, v[22:23]
	global_load_dwordx4 v[10:13], v[0:1], off
	v_mul_f64 v[14:15], v[16:17], -v[4:5]
	v_mul_f64 v[16:17], v[2:3], v[16:17]
	v_fmac_f64_e32 v[14:15], v[2:3], v[18:19]
	v_fmac_f64_e32 v[16:17], v[4:5], v[18:19]
                                        ; implicit-def: $vgpr22_vgpr23
                                        ; implicit-def: $vgpr4_vgpr5
                                        ; implicit-def: $vgpr18_vgpr19
                                        ; implicit-def: $vgpr24_vgpr25
	s_waitcnt vmcnt(0)
	v_fmac_f64_e32 v[14:15], v[6:7], v[10:11]
	v_fmac_f64_e32 v[16:17], v[8:9], v[10:11]
	v_fma_f64 v[14:15], -v[8:9], v[12:13], v[14:15]
	v_fmac_f64_e32 v[16:17], v[6:7], v[12:13]
	global_store_dwordx4 v[0:1], v[14:17], off
                                        ; implicit-def: $vgpr16_vgpr17
                                        ; implicit-def: $vgpr14
.LBB42_43:
	s_andn2_saveexec_b64 s[4:5], s[4:5]
	s_cbranch_execz .LBB42_48
; %bb.44:
	v_mul_f64 v[0:1], v[16:17], -v[4:5]
	v_fmac_f64_e32 v[0:1], v[2:3], v[18:19]
	v_mul_f64 v[2:3], v[2:3], v[16:17]
	v_fmac_f64_e32 v[2:3], v[4:5], v[18:19]
	s_and_b64 vcc, exec, s[0:1]
	s_mov_b64 s[0:1], -1
	s_cbranch_vccnz .LBB42_46
; %bb.45:
	v_lshl_add_u64 v[4:5], v[14:15], 4, v[24:25]
	s_mov_b64 s[0:1], 0
	global_store_dwordx4 v[4:5], v[0:3], off
.LBB42_46:
	s_andn2_b64 vcc, exec, s[0:1]
	s_cbranch_vccnz .LBB42_48
; %bb.47:
	v_mul_lo_u32 v6, s3, v14
	v_mul_lo_u32 v7, s2, v15
	v_mad_u64_u32 v[4:5], s[0:1], s2, v14, 0
	v_add3_u32 v5, v5, v7, v6
	v_lshl_add_u64 v[4:5], v[4:5], 4, v[22:23]
	global_store_dwordx4 v[4:5], v[0:3], off
.LBB42_48:
	s_endpgm
	.section	.rodata,"a",@progbits
	.p2align	6, 0x0
	.amdhsa_kernel _ZN9rocsparseL31bsrmm_large_blockdim_kernel_extILj16ELj16ELj2Eli21rocsparse_complex_numIdES2_S2_S2_EEvb20rocsparse_direction_T3_S4_llNS_24const_host_device_scalarIT7_EEPKT2_PKS4_PKT4_S4_PKT5_llS7_PT6_ll16rocsparse_order_21rocsparse_index_base_b
		.amdhsa_group_segment_fixed_size 12288
		.amdhsa_private_segment_fixed_size 0
		.amdhsa_kernarg_size 156
		.amdhsa_user_sgpr_count 2
		.amdhsa_user_sgpr_dispatch_ptr 0
		.amdhsa_user_sgpr_queue_ptr 0
		.amdhsa_user_sgpr_kernarg_segment_ptr 1
		.amdhsa_user_sgpr_dispatch_id 0
		.amdhsa_user_sgpr_kernarg_preload_length 0
		.amdhsa_user_sgpr_kernarg_preload_offset 0
		.amdhsa_user_sgpr_private_segment_size 0
		.amdhsa_uses_dynamic_stack 0
		.amdhsa_enable_private_segment 0
		.amdhsa_system_sgpr_workgroup_id_x 1
		.amdhsa_system_sgpr_workgroup_id_y 1
		.amdhsa_system_sgpr_workgroup_id_z 0
		.amdhsa_system_sgpr_workgroup_info 0
		.amdhsa_system_vgpr_workitem_id 1
		.amdhsa_next_free_vgpr 48
		.amdhsa_next_free_sgpr 38
		.amdhsa_accum_offset 48
		.amdhsa_reserve_vcc 1
		.amdhsa_float_round_mode_32 0
		.amdhsa_float_round_mode_16_64 0
		.amdhsa_float_denorm_mode_32 3
		.amdhsa_float_denorm_mode_16_64 3
		.amdhsa_dx10_clamp 1
		.amdhsa_ieee_mode 1
		.amdhsa_fp16_overflow 0
		.amdhsa_tg_split 0
		.amdhsa_exception_fp_ieee_invalid_op 0
		.amdhsa_exception_fp_denorm_src 0
		.amdhsa_exception_fp_ieee_div_zero 0
		.amdhsa_exception_fp_ieee_overflow 0
		.amdhsa_exception_fp_ieee_underflow 0
		.amdhsa_exception_fp_ieee_inexact 0
		.amdhsa_exception_int_div_zero 0
	.end_amdhsa_kernel
	.section	.text._ZN9rocsparseL31bsrmm_large_blockdim_kernel_extILj16ELj16ELj2Eli21rocsparse_complex_numIdES2_S2_S2_EEvb20rocsparse_direction_T3_S4_llNS_24const_host_device_scalarIT7_EEPKT2_PKS4_PKT4_S4_PKT5_llS7_PT6_ll16rocsparse_order_21rocsparse_index_base_b,"axG",@progbits,_ZN9rocsparseL31bsrmm_large_blockdim_kernel_extILj16ELj16ELj2Eli21rocsparse_complex_numIdES2_S2_S2_EEvb20rocsparse_direction_T3_S4_llNS_24const_host_device_scalarIT7_EEPKT2_PKS4_PKT4_S4_PKT5_llS7_PT6_ll16rocsparse_order_21rocsparse_index_base_b,comdat
.Lfunc_end42:
	.size	_ZN9rocsparseL31bsrmm_large_blockdim_kernel_extILj16ELj16ELj2Eli21rocsparse_complex_numIdES2_S2_S2_EEvb20rocsparse_direction_T3_S4_llNS_24const_host_device_scalarIT7_EEPKT2_PKS4_PKT4_S4_PKT5_llS7_PT6_ll16rocsparse_order_21rocsparse_index_base_b, .Lfunc_end42-_ZN9rocsparseL31bsrmm_large_blockdim_kernel_extILj16ELj16ELj2Eli21rocsparse_complex_numIdES2_S2_S2_EEvb20rocsparse_direction_T3_S4_llNS_24const_host_device_scalarIT7_EEPKT2_PKS4_PKT4_S4_PKT5_llS7_PT6_ll16rocsparse_order_21rocsparse_index_base_b
                                        ; -- End function
	.set _ZN9rocsparseL31bsrmm_large_blockdim_kernel_extILj16ELj16ELj2Eli21rocsparse_complex_numIdES2_S2_S2_EEvb20rocsparse_direction_T3_S4_llNS_24const_host_device_scalarIT7_EEPKT2_PKS4_PKT4_S4_PKT5_llS7_PT6_ll16rocsparse_order_21rocsparse_index_base_b.num_vgpr, 48
	.set _ZN9rocsparseL31bsrmm_large_blockdim_kernel_extILj16ELj16ELj2Eli21rocsparse_complex_numIdES2_S2_S2_EEvb20rocsparse_direction_T3_S4_llNS_24const_host_device_scalarIT7_EEPKT2_PKS4_PKT4_S4_PKT5_llS7_PT6_ll16rocsparse_order_21rocsparse_index_base_b.num_agpr, 0
	.set _ZN9rocsparseL31bsrmm_large_blockdim_kernel_extILj16ELj16ELj2Eli21rocsparse_complex_numIdES2_S2_S2_EEvb20rocsparse_direction_T3_S4_llNS_24const_host_device_scalarIT7_EEPKT2_PKS4_PKT4_S4_PKT5_llS7_PT6_ll16rocsparse_order_21rocsparse_index_base_b.numbered_sgpr, 38
	.set _ZN9rocsparseL31bsrmm_large_blockdim_kernel_extILj16ELj16ELj2Eli21rocsparse_complex_numIdES2_S2_S2_EEvb20rocsparse_direction_T3_S4_llNS_24const_host_device_scalarIT7_EEPKT2_PKS4_PKT4_S4_PKT5_llS7_PT6_ll16rocsparse_order_21rocsparse_index_base_b.num_named_barrier, 0
	.set _ZN9rocsparseL31bsrmm_large_blockdim_kernel_extILj16ELj16ELj2Eli21rocsparse_complex_numIdES2_S2_S2_EEvb20rocsparse_direction_T3_S4_llNS_24const_host_device_scalarIT7_EEPKT2_PKS4_PKT4_S4_PKT5_llS7_PT6_ll16rocsparse_order_21rocsparse_index_base_b.private_seg_size, 0
	.set _ZN9rocsparseL31bsrmm_large_blockdim_kernel_extILj16ELj16ELj2Eli21rocsparse_complex_numIdES2_S2_S2_EEvb20rocsparse_direction_T3_S4_llNS_24const_host_device_scalarIT7_EEPKT2_PKS4_PKT4_S4_PKT5_llS7_PT6_ll16rocsparse_order_21rocsparse_index_base_b.uses_vcc, 1
	.set _ZN9rocsparseL31bsrmm_large_blockdim_kernel_extILj16ELj16ELj2Eli21rocsparse_complex_numIdES2_S2_S2_EEvb20rocsparse_direction_T3_S4_llNS_24const_host_device_scalarIT7_EEPKT2_PKS4_PKT4_S4_PKT5_llS7_PT6_ll16rocsparse_order_21rocsparse_index_base_b.uses_flat_scratch, 0
	.set _ZN9rocsparseL31bsrmm_large_blockdim_kernel_extILj16ELj16ELj2Eli21rocsparse_complex_numIdES2_S2_S2_EEvb20rocsparse_direction_T3_S4_llNS_24const_host_device_scalarIT7_EEPKT2_PKS4_PKT4_S4_PKT5_llS7_PT6_ll16rocsparse_order_21rocsparse_index_base_b.has_dyn_sized_stack, 0
	.set _ZN9rocsparseL31bsrmm_large_blockdim_kernel_extILj16ELj16ELj2Eli21rocsparse_complex_numIdES2_S2_S2_EEvb20rocsparse_direction_T3_S4_llNS_24const_host_device_scalarIT7_EEPKT2_PKS4_PKT4_S4_PKT5_llS7_PT6_ll16rocsparse_order_21rocsparse_index_base_b.has_recursion, 0
	.set _ZN9rocsparseL31bsrmm_large_blockdim_kernel_extILj16ELj16ELj2Eli21rocsparse_complex_numIdES2_S2_S2_EEvb20rocsparse_direction_T3_S4_llNS_24const_host_device_scalarIT7_EEPKT2_PKS4_PKT4_S4_PKT5_llS7_PT6_ll16rocsparse_order_21rocsparse_index_base_b.has_indirect_call, 0
	.section	.AMDGPU.csdata,"",@progbits
; Kernel info:
; codeLenInByte = 1976
; TotalNumSgprs: 44
; NumVgprs: 48
; NumAgprs: 0
; TotalNumVgprs: 48
; ScratchSize: 0
; MemoryBound: 0
; FloatMode: 240
; IeeeMode: 1
; LDSByteSize: 12288 bytes/workgroup (compile time only)
; SGPRBlocks: 5
; VGPRBlocks: 5
; NumSGPRsForWavesPerEU: 44
; NumVGPRsForWavesPerEU: 48
; AccumOffset: 48
; Occupancy: 8
; WaveLimiterHint : 0
; COMPUTE_PGM_RSRC2:SCRATCH_EN: 0
; COMPUTE_PGM_RSRC2:USER_SGPR: 2
; COMPUTE_PGM_RSRC2:TRAP_HANDLER: 0
; COMPUTE_PGM_RSRC2:TGID_X_EN: 1
; COMPUTE_PGM_RSRC2:TGID_Y_EN: 1
; COMPUTE_PGM_RSRC2:TGID_Z_EN: 0
; COMPUTE_PGM_RSRC2:TIDIG_COMP_CNT: 1
; COMPUTE_PGM_RSRC3_GFX90A:ACCUM_OFFSET: 11
; COMPUTE_PGM_RSRC3_GFX90A:TG_SPLIT: 0
	.section	.text._ZN9rocsparseL31bsrmm_large_blockdim_kernel_extILj32ELj32ELj2Eli21rocsparse_complex_numIdES2_S2_S2_EEvb20rocsparse_direction_T3_S4_llNS_24const_host_device_scalarIT7_EEPKT2_PKS4_PKT4_S4_PKT5_llS7_PT6_ll16rocsparse_order_21rocsparse_index_base_b,"axG",@progbits,_ZN9rocsparseL31bsrmm_large_blockdim_kernel_extILj32ELj32ELj2Eli21rocsparse_complex_numIdES2_S2_S2_EEvb20rocsparse_direction_T3_S4_llNS_24const_host_device_scalarIT7_EEPKT2_PKS4_PKT4_S4_PKT5_llS7_PT6_ll16rocsparse_order_21rocsparse_index_base_b,comdat
	.globl	_ZN9rocsparseL31bsrmm_large_blockdim_kernel_extILj32ELj32ELj2Eli21rocsparse_complex_numIdES2_S2_S2_EEvb20rocsparse_direction_T3_S4_llNS_24const_host_device_scalarIT7_EEPKT2_PKS4_PKT4_S4_PKT5_llS7_PT6_ll16rocsparse_order_21rocsparse_index_base_b ; -- Begin function _ZN9rocsparseL31bsrmm_large_blockdim_kernel_extILj32ELj32ELj2Eli21rocsparse_complex_numIdES2_S2_S2_EEvb20rocsparse_direction_T3_S4_llNS_24const_host_device_scalarIT7_EEPKT2_PKS4_PKT4_S4_PKT5_llS7_PT6_ll16rocsparse_order_21rocsparse_index_base_b
	.p2align	8
	.type	_ZN9rocsparseL31bsrmm_large_blockdim_kernel_extILj32ELj32ELj2Eli21rocsparse_complex_numIdES2_S2_S2_EEvb20rocsparse_direction_T3_S4_llNS_24const_host_device_scalarIT7_EEPKT2_PKS4_PKT4_S4_PKT5_llS7_PT6_ll16rocsparse_order_21rocsparse_index_base_b,@function
_ZN9rocsparseL31bsrmm_large_blockdim_kernel_extILj32ELj32ELj2Eli21rocsparse_complex_numIdES2_S2_S2_EEvb20rocsparse_direction_T3_S4_llNS_24const_host_device_scalarIT7_EEPKT2_PKS4_PKT4_S4_PKT5_llS7_PT6_ll16rocsparse_order_21rocsparse_index_base_b: ; @_ZN9rocsparseL31bsrmm_large_blockdim_kernel_extILj32ELj32ELj2Eli21rocsparse_complex_numIdES2_S2_S2_EEvb20rocsparse_direction_T3_S4_llNS_24const_host_device_scalarIT7_EEPKT2_PKS4_PKT4_S4_PKT5_llS7_PT6_ll16rocsparse_order_21rocsparse_index_base_b
; %bb.0:
	s_load_dwordx2 s[6:7], s[0:1], 0x20
	s_load_dwordx4 s[16:19], s[0:1], 0x90
	s_mov_b32 s4, s3
	s_add_u32 s3, s0, 32
	s_addc_u32 s5, s1, 0
	s_add_u32 s10, s0, 0x68
	s_load_dwordx2 s[8:9], s[0:1], 0x68
	s_addc_u32 s11, s1, 0
	s_waitcnt lgkmcnt(0)
	s_bitcmp1_b32 s18, 0
	s_cselect_b32 s5, s5, s7
	s_cselect_b32 s3, s3, s6
	v_mov_b32_e32 v2, s3
	v_mov_b32_e32 v3, s5
	flat_load_dwordx4 v[2:5], v[2:3]
	s_cselect_b32 s3, s11, s9
	s_cselect_b32 s5, s10, s8
	v_mov_b32_e32 v6, s5
	v_mov_b32_e32 v7, s3
	flat_load_dwordx4 v[6:9], v[6:7]
	s_waitcnt vmcnt(0) lgkmcnt(0)
	v_cmp_eq_f64_e32 vcc, 0, v[2:3]
	v_cmp_eq_f64_e64 s[6:7], 0, v[4:5]
	s_and_b64 s[10:11], vcc, s[6:7]
	s_mov_b64 s[6:7], -1
	s_and_saveexec_b64 s[8:9], s[10:11]
; %bb.1:
	v_cmp_neq_f64_e32 vcc, 1.0, v[6:7]
	v_cmp_neq_f64_e64 s[6:7], 0, v[8:9]
	s_or_b64 s[6:7], vcc, s[6:7]
	s_orn2_b64 s[6:7], s[6:7], exec
; %bb.2:
	s_or_b64 exec, exec, s[8:9]
	s_and_saveexec_b64 s[8:9], s[6:7]
	s_cbranch_execz .LBB43_48
; %bb.3:
	s_load_dwordx4 s[12:15], s[0:1], 0x0
	s_load_dwordx2 s[6:7], s[0:1], 0x30
	s_mov_b64 s[30:31], 0
	s_mov_b64 s[34:35], 0
	s_waitcnt lgkmcnt(0)
	s_cmp_lt_i32 s2, s14
	s_cselect_b64 s[18:19], -1, 0
	s_cmp_ge_i32 s2, s14
	s_cbranch_scc1 .LBB43_5
; %bb.4:
	s_ashr_i32 s3, s2, 31
	s_lshl_b64 s[8:9], s[2:3], 3
	s_add_u32 s8, s6, s8
	s_addc_u32 s9, s7, s9
	s_load_dwordx2 s[8:9], s[8:9], 0x0
	s_waitcnt lgkmcnt(0)
	s_sub_u32 s34, s8, s17
	s_subb_u32 s35, s9, 0
.LBB43_5:
	s_andn2_b64 vcc, exec, s[18:19]
	s_cbranch_vccnz .LBB43_7
; %bb.6:
	s_ashr_i32 s3, s2, 31
	s_lshl_b64 s[8:9], s[2:3], 3
	s_add_u32 s6, s6, s8
	s_addc_u32 s7, s7, s9
	s_load_dwordx2 s[6:7], s[6:7], 0x8
	s_waitcnt lgkmcnt(0)
	s_sub_u32 s30, s6, s17
	s_subb_u32 s31, s7, 0
.LBB43_7:
	s_load_dwordx2 s[28:29], s[0:1], 0x78
	s_load_dword s3, s[0:1], 0x48
	v_bfe_u32 v10, v0, 10, 10
	v_lshl_add_u32 v20, s4, 6, v10
	v_and_b32_e32 v30, 0x3ff, v0
	v_mov_b64_e32 v[0:1], s[30:31]
	v_add_u32_e32 v14, 32, v20
	v_cmp_ge_i64_e32 vcc, s[34:35], v[0:1]
	s_waitcnt lgkmcnt(0)
	v_cmp_gt_i32_e64 s[4:5], s3, v30
	v_mov_b64_e32 v[0:1], 0
	s_and_b64 vcc, exec, vcc
	v_cmp_gt_i32_e64 s[6:7], s15, v20
	v_cmp_gt_i32_e64 s[8:9], s15, v14
	v_mov_b64_e32 v[12:13], 0
	v_mov_b64_e32 v[16:17], 0
	v_mov_b64_e32 v[18:19], 0
	s_cbranch_vccnz .LBB43_25
; %bb.8:
	s_load_dwordx4 s[20:23], s[0:1], 0x38
	s_load_dwordx4 s[24:27], s[0:1], 0x50
	v_cmp_gt_i32_e32 vcc, s3, v10
	v_lshlrev_b32_e32 v0, 4, v10
	v_lshlrev_b32_e32 v31, 9, v10
	v_mul_lo_u32 v10, s3, v10
	v_mov_b32_e32 v11, 0
	s_and_b64 s[36:37], s[4:5], vcc
	v_lshlrev_b32_e32 v12, 4, v30
	s_waitcnt lgkmcnt(0)
	v_lshl_add_u64 v[16:17], v[10:11], 4, s[22:23]
	v_mov_b32_e32 v13, v11
	v_mov_b32_e32 v1, 0x8000
	v_mul_lo_u32 v10, s3, v30
	s_bitcmp1_b32 s12, 0
	v_add_u32_e32 v32, v31, v12
	v_lshl_add_u64 v[12:13], v[16:17], 0, v[12:13]
	v_lshl_add_u32 v33, v30, 9, v1
	v_lshl_add_u64 v[16:17], v[10:11], 4, s[22:23]
	v_mov_b32_e32 v1, v11
	v_ashrrev_i32_e32 v21, 31, v20
	s_cselect_b64 s[10:11], -1, 0
	s_cmp_eq_u32 s13, 0
	v_add_u32_e32 v34, v33, v0
	v_lshl_add_u64 v[0:1], v[16:17], 0, v[0:1]
	v_mul_lo_u32 v15, s27, v20
	v_mul_lo_u32 v16, s26, v21
	v_mad_u64_u32 v[10:11], s[12:13], s26, v20, 0
	v_add3_u32 v11, v11, v16, v15
	v_ashrrev_i32_e32 v15, 31, v14
	v_mul_lo_u32 v16, s27, v14
	v_mul_lo_u32 v17, s26, v15
	v_mad_u64_u32 v[22:23], s[12:13], s26, v14, 0
	s_cselect_b64 vcc, -1, 0
	s_mul_i32 s14, s3, s3
	v_add_u32_e32 v35, 0x4000, v32
	v_add3_u32 v23, v23, v17, v16
	v_cndmask_b32_e32 v25, v13, v1, vcc
	v_cndmask_b32_e32 v24, v12, v0, vcc
	v_add_u32_e32 v36, 0x4000, v31
	v_mov_b64_e32 v[18:19], 0
	v_mov_b64_e32 v[16:17], 0
	;; [unrolled: 1-line block ×4, first 2 shown]
	s_branch .LBB43_11
.LBB43_9:                               ;   in Loop: Header=BB43_11 Depth=1
	s_or_b64 exec, exec, s[22:23]
.LBB43_10:                              ;   in Loop: Header=BB43_11 Depth=1
	s_or_b64 exec, exec, s[12:13]
	s_add_u32 s34, s34, 1
	s_addc_u32 s35, s35, 0
	v_mov_b64_e32 v[26:27], s[30:31]
	v_cmp_ge_i64_e32 vcc, s[34:35], v[26:27]
	s_barrier
	s_cbranch_vccnz .LBB43_25
.LBB43_11:                              ; =>This Loop Header: Depth=1
                                        ;     Child Loop BB43_21 Depth 2
                                        ;     Child Loop BB43_24 Depth 2
	s_and_saveexec_b64 s[12:13], s[4:5]
	s_cbranch_execz .LBB43_16
; %bb.12:                               ;   in Loop: Header=BB43_11 Depth=1
	s_lshl_b64 s[22:23], s[34:35], 2
	s_add_u32 s22, s20, s22
	s_addc_u32 s23, s21, s23
	s_load_dword s22, s[22:23], 0x0
	s_waitcnt lgkmcnt(0)
	s_sub_i32 s22, s22, s17
	s_mul_i32 s22, s22, s3
	v_add_u32_e32 v28, s22, v30
	v_ashrrev_i32_e32 v29, 31, v28
	v_mul_lo_u32 v37, s27, v28
	v_mad_u64_u32 v[26:27], s[22:23], s26, v28, 0
	v_mul_lo_u32 v38, s26, v29
	v_add3_u32 v27, v27, v38, v37
	v_lshl_add_u64 v[26:27], v[26:27], 4, s[24:25]
	v_lshl_add_u64 v[28:29], v[28:29], 4, s[24:25]
	s_and_saveexec_b64 s[22:23], s[6:7]
	s_cbranch_execz .LBB43_14
; %bb.13:                               ;   in Loop: Header=BB43_11 Depth=1
	v_lshl_add_u64 v[38:39], v[10:11], 4, v[28:29]
	v_lshl_add_u64 v[40:41], v[20:21], 4, v[26:27]
	v_cndmask_b32_e64 v39, v41, v39, s[10:11]
	v_cndmask_b32_e64 v38, v40, v38, s[10:11]
	global_load_dwordx4 v[38:41], v[38:39], off
	s_waitcnt vmcnt(0)
	ds_write2_b64 v32, v[38:39], v[40:41] offset1:1
.LBB43_14:                              ;   in Loop: Header=BB43_11 Depth=1
	s_or_b64 exec, exec, s[22:23]
	s_and_b64 exec, exec, s[8:9]
	s_cbranch_execz .LBB43_16
; %bb.15:                               ;   in Loop: Header=BB43_11 Depth=1
	v_lshl_add_u64 v[28:29], v[22:23], 4, v[28:29]
	v_lshl_add_u64 v[26:27], v[14:15], 4, v[26:27]
	v_cndmask_b32_e64 v27, v27, v29, s[10:11]
	v_cndmask_b32_e64 v26, v26, v28, s[10:11]
	global_load_dwordx4 v[26:29], v[26:27], off
	s_waitcnt vmcnt(0)
	ds_write2_b64 v35, v[26:27], v[28:29] offset1:1
.LBB43_16:                              ;   in Loop: Header=BB43_11 Depth=1
	s_or_b64 exec, exec, s[12:13]
	s_and_saveexec_b64 s[12:13], s[36:37]
	s_cbranch_execz .LBB43_18
; %bb.17:                               ;   in Loop: Header=BB43_11 Depth=1
	s_mul_i32 s22, s35, s14
	s_mul_hi_u32 s23, s34, s14
	s_add_i32 s23, s23, s22
	s_mul_i32 s22, s34, s14
	v_lshl_add_u64 v[26:27], s[22:23], 4, v[24:25]
	global_load_dwordx4 v[26:29], v[26:27], off
	s_waitcnt vmcnt(0)
	ds_write2_b64 v34, v[26:27], v[28:29] offset1:1
.LBB43_18:                              ;   in Loop: Header=BB43_11 Depth=1
	s_or_b64 exec, exec, s[12:13]
	s_waitcnt lgkmcnt(0)
	s_barrier
	s_and_saveexec_b64 s[12:13], s[4:5]
	s_cbranch_execz .LBB43_10
; %bb.19:                               ;   in Loop: Header=BB43_11 Depth=1
	s_and_saveexec_b64 s[22:23], s[6:7]
	s_cbranch_execz .LBB43_22
; %bb.20:                               ;   in Loop: Header=BB43_11 Depth=1
	v_mov_b32_e32 v26, v33
	v_mov_b32_e32 v27, v31
	s_mov_b32 s33, s3
.LBB43_21:                              ;   Parent Loop BB43_11 Depth=1
                                        ; =>  This Inner Loop Header: Depth=2
	ds_read_b128 v[38:41], v26
	ds_read_b128 v[42:45], v27
	s_add_i32 s33, s33, -1
	v_add_u32_e32 v27, 16, v27
	v_add_u32_e32 v26, 16, v26
	s_cmp_lg_u32 s33, 0
	s_waitcnt lgkmcnt(0)
	v_fmac_f64_e32 v[0:1], v[38:39], v[42:43]
	v_fmac_f64_e32 v[12:13], v[40:41], v[42:43]
	v_fma_f64 v[0:1], -v[40:41], v[44:45], v[0:1]
	v_fmac_f64_e32 v[12:13], v[38:39], v[44:45]
	s_cbranch_scc1 .LBB43_21
.LBB43_22:                              ;   in Loop: Header=BB43_11 Depth=1
	s_or_b64 exec, exec, s[22:23]
	s_and_saveexec_b64 s[22:23], s[8:9]
	s_cbranch_execz .LBB43_9
; %bb.23:                               ;   in Loop: Header=BB43_11 Depth=1
	v_mov_b32_e32 v26, v33
	s_mov_b32 s33, s3
	v_mov_b32_e32 v27, v36
.LBB43_24:                              ;   Parent Loop BB43_11 Depth=1
                                        ; =>  This Inner Loop Header: Depth=2
	ds_read_b128 v[38:41], v26
	ds_read_b128 v[42:45], v27
	s_add_i32 s33, s33, -1
	v_add_u32_e32 v27, 16, v27
	v_add_u32_e32 v26, 16, v26
	s_cmp_lg_u32 s33, 0
	s_waitcnt lgkmcnt(0)
	v_fmac_f64_e32 v[16:17], v[38:39], v[42:43]
	v_fmac_f64_e32 v[18:19], v[40:41], v[42:43]
	v_fma_f64 v[16:17], -v[40:41], v[44:45], v[16:17]
	v_fmac_f64_e32 v[18:19], v[38:39], v[44:45]
	s_cbranch_scc1 .LBB43_24
	s_branch .LBB43_9
.LBB43_25:
	s_and_b64 s[4:5], s[18:19], s[4:5]
	s_and_b64 exec, exec, s[4:5]
	s_cbranch_execz .LBB43_48
; %bb.26:
	s_mul_i32 s2, s3, s2
	v_add_u32_e32 v10, s2, v30
	s_load_dwordx2 s[2:3], s[0:1], 0x80
	v_cmp_neq_f64_e32 vcc, 0, v[6:7]
	v_cmp_neq_f64_e64 s[0:1], 0, v[8:9]
	v_ashrrev_i32_e32 v11, 31, v10
	s_or_b64 s[4:5], vcc, s[0:1]
	s_waitcnt lgkmcnt(0)
	v_mul_lo_u32 v15, s2, v11
	v_mul_lo_u32 v21, s3, v10
	v_mad_u64_u32 v[22:23], s[6:7], s2, v10, 0
	s_cmp_lg_u32 s16, 1
	v_add3_u32 v23, v23, v15, v21
	s_cselect_b64 s[0:1], -1, 0
	v_lshl_add_u64 v[24:25], v[22:23], 4, s[28:29]
	v_lshl_add_u64 v[22:23], v[10:11], 4, s[28:29]
	v_cmp_gt_i32_e32 vcc, s15, v20
	s_and_saveexec_b64 s[6:7], vcc
	s_cbranch_execz .LBB43_37
; %bb.27:
	v_ashrrev_i32_e32 v21, 31, v20
	s_and_saveexec_b64 s[8:9], s[4:5]
	s_xor_b64 s[8:9], exec, s[8:9]
	s_cbranch_execz .LBB43_32
; %bb.28:
	s_mov_b64 s[10:11], -1
	s_and_b64 vcc, exec, s[0:1]
	s_cbranch_vccz .LBB43_30
; %bb.29:
	v_lshl_add_u64 v[10:11], v[20:21], 4, v[24:25]
	global_load_dwordx4 v[26:29], v[10:11], off
	v_mul_f64 v[30:31], v[12:13], -v[4:5]
	v_mul_f64 v[32:33], v[2:3], v[12:13]
	v_fmac_f64_e32 v[30:31], v[2:3], v[0:1]
	v_fmac_f64_e32 v[32:33], v[4:5], v[0:1]
	s_mov_b64 s[10:11], 0
	s_waitcnt vmcnt(0)
	v_fmac_f64_e32 v[30:31], v[6:7], v[26:27]
	v_fmac_f64_e32 v[32:33], v[8:9], v[26:27]
	v_fma_f64 v[30:31], -v[8:9], v[28:29], v[30:31]
	v_fmac_f64_e32 v[32:33], v[6:7], v[28:29]
	global_store_dwordx4 v[10:11], v[30:33], off
.LBB43_30:
	s_andn2_b64 vcc, exec, s[10:11]
	s_cbranch_vccnz .LBB43_32
; %bb.31:
	v_mul_lo_u32 v15, s3, v20
	v_mul_lo_u32 v21, s2, v21
	v_mad_u64_u32 v[10:11], s[10:11], s2, v20, 0
	v_add3_u32 v11, v11, v21, v15
	v_lshl_add_u64 v[20:21], v[10:11], 4, v[22:23]
	global_load_dwordx4 v[26:29], v[20:21], off
	v_mul_f64 v[10:11], v[12:13], -v[4:5]
	v_mul_f64 v[12:13], v[2:3], v[12:13]
	v_fmac_f64_e32 v[10:11], v[2:3], v[0:1]
	v_fmac_f64_e32 v[12:13], v[4:5], v[0:1]
                                        ; implicit-def: $vgpr0_vgpr1
	s_waitcnt vmcnt(0)
	v_fmac_f64_e32 v[10:11], v[6:7], v[26:27]
	v_fmac_f64_e32 v[12:13], v[8:9], v[26:27]
	v_fma_f64 v[10:11], -v[8:9], v[28:29], v[10:11]
	v_fmac_f64_e32 v[12:13], v[6:7], v[28:29]
	global_store_dwordx4 v[20:21], v[10:13], off
                                        ; implicit-def: $vgpr12_vgpr13
                                        ; implicit-def: $vgpr20
.LBB43_32:
	s_andn2_saveexec_b64 s[8:9], s[8:9]
	s_cbranch_execz .LBB43_37
; %bb.33:
	v_mul_f64 v[10:11], v[12:13], -v[4:5]
	v_mul_f64 v[12:13], v[2:3], v[12:13]
	v_fmac_f64_e32 v[10:11], v[2:3], v[0:1]
	v_fmac_f64_e32 v[12:13], v[4:5], v[0:1]
	s_mov_b64 s[8:9], -1
	s_and_b64 vcc, exec, s[0:1]
	s_cbranch_vccz .LBB43_35
; %bb.34:
	v_lshl_add_u64 v[0:1], v[20:21], 4, v[24:25]
	global_store_dwordx4 v[0:1], v[10:13], off
	s_mov_b64 s[8:9], 0
.LBB43_35:
	s_andn2_b64 vcc, exec, s[8:9]
	s_cbranch_vccnz .LBB43_37
; %bb.36:
	v_mul_lo_u32 v15, s3, v20
	v_mul_lo_u32 v21, s2, v21
	v_mad_u64_u32 v[0:1], s[8:9], s2, v20, 0
	v_add3_u32 v1, v1, v21, v15
	v_lshl_add_u64 v[0:1], v[0:1], 4, v[22:23]
	global_store_dwordx4 v[0:1], v[10:13], off
.LBB43_37:
	s_or_b64 exec, exec, s[6:7]
	v_cmp_gt_i32_e32 vcc, s15, v14
	s_and_b64 exec, exec, vcc
	s_cbranch_execz .LBB43_48
; %bb.38:
	v_cndmask_b32_e64 v0, 0, 1, s[0:1]
	v_ashrrev_i32_e32 v15, 31, v14
	v_cmp_ne_u32_e64 s[0:1], 1, v0
	s_and_saveexec_b64 s[6:7], s[4:5]
	s_xor_b64 s[4:5], exec, s[6:7]
	s_cbranch_execz .LBB43_43
; %bb.39:
	s_and_b64 vcc, exec, s[0:1]
	s_mov_b64 s[6:7], -1
	s_cbranch_vccnz .LBB43_41
; %bb.40:
	v_lshl_add_u64 v[0:1], v[14:15], 4, v[24:25]
	global_load_dwordx4 v[10:13], v[0:1], off
	v_mul_f64 v[20:21], v[18:19], -v[4:5]
	v_mul_f64 v[26:27], v[2:3], v[18:19]
	v_fmac_f64_e32 v[20:21], v[2:3], v[16:17]
	v_fmac_f64_e32 v[26:27], v[4:5], v[16:17]
	s_mov_b64 s[6:7], 0
	s_waitcnt vmcnt(0)
	v_fmac_f64_e32 v[20:21], v[6:7], v[10:11]
	v_fmac_f64_e32 v[26:27], v[8:9], v[10:11]
	v_fma_f64 v[24:25], -v[8:9], v[12:13], v[20:21]
	v_fmac_f64_e32 v[26:27], v[6:7], v[12:13]
	global_store_dwordx4 v[0:1], v[24:27], off
.LBB43_41:
	s_andn2_b64 vcc, exec, s[6:7]
                                        ; implicit-def: $vgpr24_vgpr25
	s_cbranch_vccnz .LBB43_43
; %bb.42:
	v_mul_lo_u32 v10, s3, v14
	v_mul_lo_u32 v11, s2, v15
	v_mad_u64_u32 v[0:1], s[6:7], s2, v14, 0
	v_add3_u32 v1, v1, v11, v10
	v_lshl_add_u64 v[0:1], v[0:1], 4, v[22:23]
	global_load_dwordx4 v[10:13], v[0:1], off
	v_mul_f64 v[14:15], v[18:19], -v[4:5]
	v_mul_f64 v[18:19], v[2:3], v[18:19]
	v_fmac_f64_e32 v[14:15], v[2:3], v[16:17]
	v_fmac_f64_e32 v[18:19], v[4:5], v[16:17]
                                        ; implicit-def: $vgpr22_vgpr23
                                        ; implicit-def: $vgpr4_vgpr5
                                        ; implicit-def: $vgpr24_vgpr25
	s_waitcnt vmcnt(0)
	v_fmac_f64_e32 v[14:15], v[6:7], v[10:11]
	v_fmac_f64_e32 v[18:19], v[8:9], v[10:11]
	v_fma_f64 v[16:17], -v[8:9], v[12:13], v[14:15]
	v_fmac_f64_e32 v[18:19], v[6:7], v[12:13]
	global_store_dwordx4 v[0:1], v[16:19], off
                                        ; implicit-def: $vgpr18_vgpr19
                                        ; implicit-def: $vgpr16_vgpr17
                                        ; implicit-def: $vgpr14
.LBB43_43:
	s_andn2_saveexec_b64 s[4:5], s[4:5]
	s_cbranch_execz .LBB43_48
; %bb.44:
	v_mul_f64 v[0:1], v[18:19], -v[4:5]
	v_fmac_f64_e32 v[0:1], v[2:3], v[16:17]
	v_mul_f64 v[2:3], v[2:3], v[18:19]
	v_fmac_f64_e32 v[2:3], v[4:5], v[16:17]
	s_and_b64 vcc, exec, s[0:1]
	s_mov_b64 s[0:1], -1
	s_cbranch_vccnz .LBB43_46
; %bb.45:
	v_lshl_add_u64 v[4:5], v[14:15], 4, v[24:25]
	s_mov_b64 s[0:1], 0
	global_store_dwordx4 v[4:5], v[0:3], off
.LBB43_46:
	s_andn2_b64 vcc, exec, s[0:1]
	s_cbranch_vccnz .LBB43_48
; %bb.47:
	v_mul_lo_u32 v6, s3, v14
	v_mul_lo_u32 v7, s2, v15
	v_mad_u64_u32 v[4:5], s[0:1], s2, v14, 0
	v_add3_u32 v5, v5, v7, v6
	v_lshl_add_u64 v[4:5], v[4:5], 4, v[22:23]
	global_store_dwordx4 v[4:5], v[0:3], off
.LBB43_48:
	s_endpgm
	.section	.rodata,"a",@progbits
	.p2align	6, 0x0
	.amdhsa_kernel _ZN9rocsparseL31bsrmm_large_blockdim_kernel_extILj32ELj32ELj2Eli21rocsparse_complex_numIdES2_S2_S2_EEvb20rocsparse_direction_T3_S4_llNS_24const_host_device_scalarIT7_EEPKT2_PKS4_PKT4_S4_PKT5_llS7_PT6_ll16rocsparse_order_21rocsparse_index_base_b
		.amdhsa_group_segment_fixed_size 49152
		.amdhsa_private_segment_fixed_size 0
		.amdhsa_kernarg_size 156
		.amdhsa_user_sgpr_count 2
		.amdhsa_user_sgpr_dispatch_ptr 0
		.amdhsa_user_sgpr_queue_ptr 0
		.amdhsa_user_sgpr_kernarg_segment_ptr 1
		.amdhsa_user_sgpr_dispatch_id 0
		.amdhsa_user_sgpr_kernarg_preload_length 0
		.amdhsa_user_sgpr_kernarg_preload_offset 0
		.amdhsa_user_sgpr_private_segment_size 0
		.amdhsa_uses_dynamic_stack 0
		.amdhsa_enable_private_segment 0
		.amdhsa_system_sgpr_workgroup_id_x 1
		.amdhsa_system_sgpr_workgroup_id_y 1
		.amdhsa_system_sgpr_workgroup_id_z 0
		.amdhsa_system_sgpr_workgroup_info 0
		.amdhsa_system_vgpr_workitem_id 1
		.amdhsa_next_free_vgpr 46
		.amdhsa_next_free_sgpr 38
		.amdhsa_accum_offset 48
		.amdhsa_reserve_vcc 1
		.amdhsa_float_round_mode_32 0
		.amdhsa_float_round_mode_16_64 0
		.amdhsa_float_denorm_mode_32 3
		.amdhsa_float_denorm_mode_16_64 3
		.amdhsa_dx10_clamp 1
		.amdhsa_ieee_mode 1
		.amdhsa_fp16_overflow 0
		.amdhsa_tg_split 0
		.amdhsa_exception_fp_ieee_invalid_op 0
		.amdhsa_exception_fp_denorm_src 0
		.amdhsa_exception_fp_ieee_div_zero 0
		.amdhsa_exception_fp_ieee_overflow 0
		.amdhsa_exception_fp_ieee_underflow 0
		.amdhsa_exception_fp_ieee_inexact 0
		.amdhsa_exception_int_div_zero 0
	.end_amdhsa_kernel
	.section	.text._ZN9rocsparseL31bsrmm_large_blockdim_kernel_extILj32ELj32ELj2Eli21rocsparse_complex_numIdES2_S2_S2_EEvb20rocsparse_direction_T3_S4_llNS_24const_host_device_scalarIT7_EEPKT2_PKS4_PKT4_S4_PKT5_llS7_PT6_ll16rocsparse_order_21rocsparse_index_base_b,"axG",@progbits,_ZN9rocsparseL31bsrmm_large_blockdim_kernel_extILj32ELj32ELj2Eli21rocsparse_complex_numIdES2_S2_S2_EEvb20rocsparse_direction_T3_S4_llNS_24const_host_device_scalarIT7_EEPKT2_PKS4_PKT4_S4_PKT5_llS7_PT6_ll16rocsparse_order_21rocsparse_index_base_b,comdat
.Lfunc_end43:
	.size	_ZN9rocsparseL31bsrmm_large_blockdim_kernel_extILj32ELj32ELj2Eli21rocsparse_complex_numIdES2_S2_S2_EEvb20rocsparse_direction_T3_S4_llNS_24const_host_device_scalarIT7_EEPKT2_PKS4_PKT4_S4_PKT5_llS7_PT6_ll16rocsparse_order_21rocsparse_index_base_b, .Lfunc_end43-_ZN9rocsparseL31bsrmm_large_blockdim_kernel_extILj32ELj32ELj2Eli21rocsparse_complex_numIdES2_S2_S2_EEvb20rocsparse_direction_T3_S4_llNS_24const_host_device_scalarIT7_EEPKT2_PKS4_PKT4_S4_PKT5_llS7_PT6_ll16rocsparse_order_21rocsparse_index_base_b
                                        ; -- End function
	.set _ZN9rocsparseL31bsrmm_large_blockdim_kernel_extILj32ELj32ELj2Eli21rocsparse_complex_numIdES2_S2_S2_EEvb20rocsparse_direction_T3_S4_llNS_24const_host_device_scalarIT7_EEPKT2_PKS4_PKT4_S4_PKT5_llS7_PT6_ll16rocsparse_order_21rocsparse_index_base_b.num_vgpr, 46
	.set _ZN9rocsparseL31bsrmm_large_blockdim_kernel_extILj32ELj32ELj2Eli21rocsparse_complex_numIdES2_S2_S2_EEvb20rocsparse_direction_T3_S4_llNS_24const_host_device_scalarIT7_EEPKT2_PKS4_PKT4_S4_PKT5_llS7_PT6_ll16rocsparse_order_21rocsparse_index_base_b.num_agpr, 0
	.set _ZN9rocsparseL31bsrmm_large_blockdim_kernel_extILj32ELj32ELj2Eli21rocsparse_complex_numIdES2_S2_S2_EEvb20rocsparse_direction_T3_S4_llNS_24const_host_device_scalarIT7_EEPKT2_PKS4_PKT4_S4_PKT5_llS7_PT6_ll16rocsparse_order_21rocsparse_index_base_b.numbered_sgpr, 38
	.set _ZN9rocsparseL31bsrmm_large_blockdim_kernel_extILj32ELj32ELj2Eli21rocsparse_complex_numIdES2_S2_S2_EEvb20rocsparse_direction_T3_S4_llNS_24const_host_device_scalarIT7_EEPKT2_PKS4_PKT4_S4_PKT5_llS7_PT6_ll16rocsparse_order_21rocsparse_index_base_b.num_named_barrier, 0
	.set _ZN9rocsparseL31bsrmm_large_blockdim_kernel_extILj32ELj32ELj2Eli21rocsparse_complex_numIdES2_S2_S2_EEvb20rocsparse_direction_T3_S4_llNS_24const_host_device_scalarIT7_EEPKT2_PKS4_PKT4_S4_PKT5_llS7_PT6_ll16rocsparse_order_21rocsparse_index_base_b.private_seg_size, 0
	.set _ZN9rocsparseL31bsrmm_large_blockdim_kernel_extILj32ELj32ELj2Eli21rocsparse_complex_numIdES2_S2_S2_EEvb20rocsparse_direction_T3_S4_llNS_24const_host_device_scalarIT7_EEPKT2_PKS4_PKT4_S4_PKT5_llS7_PT6_ll16rocsparse_order_21rocsparse_index_base_b.uses_vcc, 1
	.set _ZN9rocsparseL31bsrmm_large_blockdim_kernel_extILj32ELj32ELj2Eli21rocsparse_complex_numIdES2_S2_S2_EEvb20rocsparse_direction_T3_S4_llNS_24const_host_device_scalarIT7_EEPKT2_PKS4_PKT4_S4_PKT5_llS7_PT6_ll16rocsparse_order_21rocsparse_index_base_b.uses_flat_scratch, 0
	.set _ZN9rocsparseL31bsrmm_large_blockdim_kernel_extILj32ELj32ELj2Eli21rocsparse_complex_numIdES2_S2_S2_EEvb20rocsparse_direction_T3_S4_llNS_24const_host_device_scalarIT7_EEPKT2_PKS4_PKT4_S4_PKT5_llS7_PT6_ll16rocsparse_order_21rocsparse_index_base_b.has_dyn_sized_stack, 0
	.set _ZN9rocsparseL31bsrmm_large_blockdim_kernel_extILj32ELj32ELj2Eli21rocsparse_complex_numIdES2_S2_S2_EEvb20rocsparse_direction_T3_S4_llNS_24const_host_device_scalarIT7_EEPKT2_PKS4_PKT4_S4_PKT5_llS7_PT6_ll16rocsparse_order_21rocsparse_index_base_b.has_recursion, 0
	.set _ZN9rocsparseL31bsrmm_large_blockdim_kernel_extILj32ELj32ELj2Eli21rocsparse_complex_numIdES2_S2_S2_EEvb20rocsparse_direction_T3_S4_llNS_24const_host_device_scalarIT7_EEPKT2_PKS4_PKT4_S4_PKT5_llS7_PT6_ll16rocsparse_order_21rocsparse_index_base_b.has_indirect_call, 0
	.section	.AMDGPU.csdata,"",@progbits
; Kernel info:
; codeLenInByte = 1976
; TotalNumSgprs: 44
; NumVgprs: 46
; NumAgprs: 0
; TotalNumVgprs: 46
; ScratchSize: 0
; MemoryBound: 0
; FloatMode: 240
; IeeeMode: 1
; LDSByteSize: 49152 bytes/workgroup (compile time only)
; SGPRBlocks: 5
; VGPRBlocks: 5
; NumSGPRsForWavesPerEU: 44
; NumVGPRsForWavesPerEU: 46
; AccumOffset: 48
; Occupancy: 8
; WaveLimiterHint : 0
; COMPUTE_PGM_RSRC2:SCRATCH_EN: 0
; COMPUTE_PGM_RSRC2:USER_SGPR: 2
; COMPUTE_PGM_RSRC2:TRAP_HANDLER: 0
; COMPUTE_PGM_RSRC2:TGID_X_EN: 1
; COMPUTE_PGM_RSRC2:TGID_Y_EN: 1
; COMPUTE_PGM_RSRC2:TGID_Z_EN: 0
; COMPUTE_PGM_RSRC2:TIDIG_COMP_CNT: 1
; COMPUTE_PGM_RSRC3_GFX90A:ACCUM_OFFSET: 11
; COMPUTE_PGM_RSRC3_GFX90A:TG_SPLIT: 0
	.section	.text._ZN9rocsparseL31bsrmm_large_blockdim_kernel_extILj8ELj8ELj2Ell21rocsparse_complex_numIdES2_S2_S2_EEvb20rocsparse_direction_T3_S4_llNS_24const_host_device_scalarIT7_EEPKT2_PKS4_PKT4_S4_PKT5_llS7_PT6_ll16rocsparse_order_21rocsparse_index_base_b,"axG",@progbits,_ZN9rocsparseL31bsrmm_large_blockdim_kernel_extILj8ELj8ELj2Ell21rocsparse_complex_numIdES2_S2_S2_EEvb20rocsparse_direction_T3_S4_llNS_24const_host_device_scalarIT7_EEPKT2_PKS4_PKT4_S4_PKT5_llS7_PT6_ll16rocsparse_order_21rocsparse_index_base_b,comdat
	.globl	_ZN9rocsparseL31bsrmm_large_blockdim_kernel_extILj8ELj8ELj2Ell21rocsparse_complex_numIdES2_S2_S2_EEvb20rocsparse_direction_T3_S4_llNS_24const_host_device_scalarIT7_EEPKT2_PKS4_PKT4_S4_PKT5_llS7_PT6_ll16rocsparse_order_21rocsparse_index_base_b ; -- Begin function _ZN9rocsparseL31bsrmm_large_blockdim_kernel_extILj8ELj8ELj2Ell21rocsparse_complex_numIdES2_S2_S2_EEvb20rocsparse_direction_T3_S4_llNS_24const_host_device_scalarIT7_EEPKT2_PKS4_PKT4_S4_PKT5_llS7_PT6_ll16rocsparse_order_21rocsparse_index_base_b
	.p2align	8
	.type	_ZN9rocsparseL31bsrmm_large_blockdim_kernel_extILj8ELj8ELj2Ell21rocsparse_complex_numIdES2_S2_S2_EEvb20rocsparse_direction_T3_S4_llNS_24const_host_device_scalarIT7_EEPKT2_PKS4_PKT4_S4_PKT5_llS7_PT6_ll16rocsparse_order_21rocsparse_index_base_b,@function
_ZN9rocsparseL31bsrmm_large_blockdim_kernel_extILj8ELj8ELj2Ell21rocsparse_complex_numIdES2_S2_S2_EEvb20rocsparse_direction_T3_S4_llNS_24const_host_device_scalarIT7_EEPKT2_PKS4_PKT4_S4_PKT5_llS7_PT6_ll16rocsparse_order_21rocsparse_index_base_b: ; @_ZN9rocsparseL31bsrmm_large_blockdim_kernel_extILj8ELj8ELj2Ell21rocsparse_complex_numIdES2_S2_S2_EEvb20rocsparse_direction_T3_S4_llNS_24const_host_device_scalarIT7_EEPKT2_PKS4_PKT4_S4_PKT5_llS7_PT6_ll16rocsparse_order_21rocsparse_index_base_b
; %bb.0:
	s_load_dwordx2 s[4:5], s[0:1], 0x28
	s_load_dwordx4 s[16:19], s[0:1], 0x98
	s_mov_b32 s6, s3
	s_add_u32 s3, s0, 40
	s_addc_u32 s7, s1, 0
	s_add_u32 s10, s0, 0x70
	s_load_dwordx2 s[8:9], s[0:1], 0x70
	s_addc_u32 s11, s1, 0
	s_waitcnt lgkmcnt(0)
	s_bitcmp1_b32 s18, 0
	s_cselect_b32 s5, s7, s5
	s_cselect_b32 s3, s3, s4
	v_mov_b32_e32 v2, s3
	v_mov_b32_e32 v3, s5
	flat_load_dwordx4 v[2:5], v[2:3]
	s_cselect_b32 s3, s11, s9
	s_cselect_b32 s4, s10, s8
	v_mov_b32_e32 v6, s4
	v_mov_b32_e32 v7, s3
	flat_load_dwordx4 v[6:9], v[6:7]
	s_waitcnt vmcnt(0) lgkmcnt(0)
	v_cmp_eq_f64_e32 vcc, 0, v[2:3]
	v_cmp_eq_f64_e64 s[4:5], 0, v[4:5]
	s_and_b64 s[10:11], vcc, s[4:5]
	s_mov_b64 s[4:5], -1
	s_and_saveexec_b64 s[8:9], s[10:11]
; %bb.1:
	v_cmp_neq_f64_e32 vcc, 1.0, v[6:7]
	v_cmp_neq_f64_e64 s[4:5], 0, v[8:9]
	s_or_b64 s[4:5], vcc, s[4:5]
	s_orn2_b64 s[4:5], s[4:5], exec
; %bb.2:
	s_or_b64 exec, exec, s[8:9]
	s_and_saveexec_b64 s[8:9], s[4:5]
	s_cbranch_execz .LBB44_48
; %bb.3:
	s_load_dwordx4 s[12:15], s[0:1], 0x8
	s_load_dwordx2 s[8:9], s[0:1], 0x38
	s_ashr_i32 s3, s2, 31
	v_mov_b64_e32 v[10:11], s[2:3]
	s_mov_b64 s[28:29], 0
	s_waitcnt lgkmcnt(0)
	v_cmp_le_i64_e32 vcc, s[12:13], v[10:11]
	v_cmp_gt_i64_e64 s[4:5], s[12:13], v[10:11]
	s_mov_b64 s[30:31], 0
	s_cbranch_vccnz .LBB44_5
; %bb.4:
	s_lshl_b64 s[10:11], s[2:3], 3
	s_add_u32 s10, s8, s10
	s_addc_u32 s11, s9, s11
	s_load_dwordx2 s[10:11], s[10:11], 0x0
	s_waitcnt lgkmcnt(0)
	s_sub_u32 s30, s10, s17
	s_subb_u32 s31, s11, 0
.LBB44_5:
	s_andn2_b64 vcc, exec, s[4:5]
	s_cbranch_vccnz .LBB44_7
; %bb.6:
	s_lshl_b64 s[10:11], s[2:3], 3
	s_add_u32 s8, s8, s10
	s_addc_u32 s9, s9, s11
	s_load_dwordx2 s[8:9], s[8:9], 0x8
	s_waitcnt lgkmcnt(0)
	s_sub_u32 s28, s8, s17
	s_subb_u32 s29, s9, 0
.LBB44_7:
	s_load_dwordx2 s[18:19], s[0:1], 0x80
	s_load_dwordx2 s[34:35], s[0:1], 0x50
	v_bfe_u32 v24, v0, 10, 10
	v_lshl_add_u32 v20, s6, 4, v24
	v_mov_b32_e32 v21, 0
	v_and_b32_e32 v10, 0x3ff, v0
	v_mov_b64_e32 v[0:1], s[28:29]
	v_add_u32_e32 v14, 8, v20
	v_mov_b32_e32 v15, v21
	v_mov_b32_e32 v11, v21
	v_cmp_ge_i64_e32 vcc, s[30:31], v[0:1]
	s_waitcnt lgkmcnt(0)
	v_cmp_gt_i64_e64 s[6:7], s[34:35], v[10:11]
	v_mov_b64_e32 v[0:1], 0
	s_and_b64 vcc, exec, vcc
	v_cmp_gt_i64_e64 s[8:9], s[14:15], v[20:21]
	v_cmp_gt_i64_e64 s[10:11], s[14:15], v[14:15]
	v_mov_b64_e32 v[12:13], 0
	v_mov_b64_e32 v[16:17], 0
	;; [unrolled: 1-line block ×3, first 2 shown]
	s_cbranch_vccnz .LBB44_25
; %bb.8:
	s_load_dwordx4 s[24:27], s[0:1], 0x40
	s_load_dwordx2 s[38:39], s[0:1], 0x0
	s_mul_i32 s3, s34, s35
	s_mul_hi_u32 s12, s34, s34
	v_mov_b32_e32 v25, v21
	s_add_i32 s12, s12, s3
	v_cmp_gt_i64_e32 vcc, s[34:35], v[24:25]
	s_add_i32 s3, s12, s3
	s_and_b64 s[36:37], s[6:7], vcc
	s_waitcnt lgkmcnt(0)
	s_bitcmp1_b32 s38, 0
	s_load_dwordx4 s[20:23], s[0:1], 0x58
	s_cselect_b64 s[12:13], -1, 0
	s_cmp_eq_u32 s39, 0
	v_mad_u64_u32 v[16:17], s[38:39], s34, v24, 0
	v_mov_b32_e32 v18, v17
	v_mad_u64_u32 v[18:19], s[38:39], s35, v24, v[18:19]
	v_mov_b32_e32 v17, v18
	v_lshlrev_b32_e32 v12, 4, v10
	v_mov_b32_e32 v13, v21
	v_lshlrev_b32_e32 v34, 7, v24
	v_lshl_add_u64 v[16:17], v[16:17], 4, s[26:27]
	s_waitcnt lgkmcnt(0)
	v_lshl_add_u64 v[22:23], s[20:21], 0, v[12:13]
	v_add_u32_e32 v35, v34, v12
	v_lshl_add_u64 v[12:13], v[16:17], 0, v[12:13]
	v_mad_u64_u32 v[16:17], s[38:39], s34, v10, 0
	v_mov_b32_e32 v18, v17
	v_mad_u64_u32 v[18:19], s[38:39], s35, v10, v[18:19]
	v_mov_b32_e32 v17, v18
	v_lshlrev_b32_e32 v0, 4, v24
	v_lshl_add_u64 v[16:17], v[16:17], 4, s[26:27]
	v_mov_b32_e32 v1, v21
	v_lshl_add_u64 v[16:17], v[16:17], 0, v[0:1]
	v_mov_b32_e32 v1, 0x800
	v_lshl_add_u32 v36, v10, 7, v1
	v_mad_u64_u32 v[24:25], s[26:27], s22, v20, 0
	v_add_u32_e32 v37, v36, v0
	v_mov_b32_e32 v0, v25
	v_mad_u64_u32 v[0:1], s[26:27], s23, v20, v[0:1]
	v_mad_u64_u32 v[26:27], s[26:27], s22, v14, 0
	v_mov_b32_e32 v25, v0
	v_mov_b32_e32 v0, v27
	s_cselect_b64 vcc, -1, 0
	v_cmp_gt_i64_e64 s[38:39], s[34:35], 0
	v_mad_u64_u32 v[0:1], s[26:27], s23, v14, v[0:1]
	s_mul_i32 s33, s34, s34
	v_add_u32_e32 v38, 0x400, v35
	v_mov_b32_e32 v27, v0
	s_and_b64 s[26:27], s[8:9], s[38:39]
	s_and_b64 s[38:39], s[10:11], s[38:39]
	v_cndmask_b32_e32 v29, v13, v17, vcc
	v_cndmask_b32_e32 v28, v12, v16, vcc
	v_add_u32_e32 v39, 0x400, v34
	v_mov_b64_e32 v[18:19], 0
	v_mov_b64_e32 v[16:17], 0
	;; [unrolled: 1-line block ×4, first 2 shown]
	s_branch .LBB44_11
.LBB44_9:                               ;   in Loop: Header=BB44_11 Depth=1
	s_or_b64 exec, exec, s[42:43]
.LBB44_10:                              ;   in Loop: Header=BB44_11 Depth=1
	s_or_b64 exec, exec, s[40:41]
	s_add_u32 s30, s30, 1
	s_addc_u32 s31, s31, 0
	v_mov_b64_e32 v[30:31], s[28:29]
	v_cmp_ge_i64_e32 vcc, s[30:31], v[30:31]
	; wave barrier
	s_cbranch_vccnz .LBB44_25
.LBB44_11:                              ; =>This Loop Header: Depth=1
                                        ;     Child Loop BB44_21 Depth 2
                                        ;     Child Loop BB44_24 Depth 2
	s_and_saveexec_b64 s[40:41], s[6:7]
	s_cbranch_execz .LBB44_16
; %bb.12:                               ;   in Loop: Header=BB44_11 Depth=1
	s_lshl_b64 s[42:43], s[30:31], 3
	s_add_u32 s42, s24, s42
	s_addc_u32 s43, s25, s43
	s_load_dwordx2 s[42:43], s[42:43], 0x0
	v_mov_b32_e32 v30, s34
	s_waitcnt lgkmcnt(0)
	s_sub_u32 s44, s42, s17
	s_subb_u32 s43, s43, 0
	s_mul_i32 s46, s44, s35
	s_mul_i32 s43, s43, s34
	s_mul_hi_u32 s45, s44, s34
	s_add_i32 s46, s46, s43
	s_mul_i32 s42, s44, s34
	s_add_i32 s43, s46, s45
	v_mad_u64_u32 v[30:31], s[44:45], s44, v30, v[10:11]
	v_add_u32_e32 v31, s46, v31
	v_mul_lo_u32 v32, v31, s22
	v_mul_lo_u32 v33, v30, s23
	v_mad_u64_u32 v[30:31], s[44:45], v30, s22, 0
	v_add3_u32 v31, v31, v33, v32
	v_lshl_add_u64 v[30:31], v[30:31], 4, s[20:21]
	v_lshl_add_u64 v[32:33], s[42:43], 4, v[22:23]
	s_and_saveexec_b64 s[42:43], s[8:9]
	s_cbranch_execz .LBB44_14
; %bb.13:                               ;   in Loop: Header=BB44_11 Depth=1
	v_lshl_add_u64 v[40:41], v[24:25], 4, v[32:33]
	v_lshl_add_u64 v[42:43], v[20:21], 4, v[30:31]
	v_cndmask_b32_e64 v41, v43, v41, s[12:13]
	v_cndmask_b32_e64 v40, v42, v40, s[12:13]
	global_load_dwordx4 v[40:43], v[40:41], off
	s_waitcnt vmcnt(0)
	ds_write2_b64 v35, v[40:41], v[42:43] offset1:1
.LBB44_14:                              ;   in Loop: Header=BB44_11 Depth=1
	s_or_b64 exec, exec, s[42:43]
	s_and_b64 exec, exec, s[10:11]
	s_cbranch_execz .LBB44_16
; %bb.15:                               ;   in Loop: Header=BB44_11 Depth=1
	v_lshl_add_u64 v[32:33], v[26:27], 4, v[32:33]
	v_lshl_add_u64 v[30:31], v[14:15], 4, v[30:31]
	v_cndmask_b32_e64 v31, v31, v33, s[12:13]
	v_cndmask_b32_e64 v30, v30, v32, s[12:13]
	global_load_dwordx4 v[30:33], v[30:31], off
	s_waitcnt vmcnt(0)
	ds_write2_b64 v38, v[30:31], v[32:33] offset1:1
.LBB44_16:                              ;   in Loop: Header=BB44_11 Depth=1
	s_or_b64 exec, exec, s[40:41]
	s_and_saveexec_b64 s[40:41], s[36:37]
	s_cbranch_execz .LBB44_18
; %bb.17:                               ;   in Loop: Header=BB44_11 Depth=1
	s_mul_i32 s42, s33, s31
	s_mul_hi_u32 s43, s33, s30
	s_add_i32 s42, s43, s42
	s_mul_i32 s43, s3, s30
	s_add_i32 s43, s42, s43
	s_mul_i32 s42, s33, s30
	v_lshl_add_u64 v[30:31], s[42:43], 4, v[28:29]
	global_load_dwordx4 v[30:33], v[30:31], off
	s_waitcnt vmcnt(0)
	ds_write2_b64 v37, v[30:31], v[32:33] offset1:1
.LBB44_18:                              ;   in Loop: Header=BB44_11 Depth=1
	s_or_b64 exec, exec, s[40:41]
	s_waitcnt lgkmcnt(0)
	; wave barrier
	s_and_saveexec_b64 s[40:41], s[6:7]
	s_cbranch_execz .LBB44_10
; %bb.19:                               ;   in Loop: Header=BB44_11 Depth=1
	s_and_saveexec_b64 s[42:43], s[26:27]
	s_cbranch_execz .LBB44_22
; %bb.20:                               ;   in Loop: Header=BB44_11 Depth=1
	v_mov_b32_e32 v30, v36
	v_mov_b32_e32 v31, v34
	s_mov_b64 s[44:45], s[34:35]
.LBB44_21:                              ;   Parent Loop BB44_11 Depth=1
                                        ; =>  This Inner Loop Header: Depth=2
	ds_read_b128 v[40:43], v30
	ds_read_b128 v[44:47], v31
	s_add_u32 s44, s44, -1
	s_addc_u32 s45, s45, -1
	v_add_u32_e32 v31, 16, v31
	v_add_u32_e32 v30, 16, v30
	s_waitcnt lgkmcnt(0)
	v_fmac_f64_e32 v[0:1], v[40:41], v[44:45]
	v_fmac_f64_e32 v[12:13], v[42:43], v[44:45]
	s_cmp_lg_u64 s[44:45], 0
	v_fma_f64 v[0:1], -v[42:43], v[46:47], v[0:1]
	v_fmac_f64_e32 v[12:13], v[40:41], v[46:47]
	s_cbranch_scc1 .LBB44_21
.LBB44_22:                              ;   in Loop: Header=BB44_11 Depth=1
	s_or_b64 exec, exec, s[42:43]
	s_and_saveexec_b64 s[42:43], s[38:39]
	s_cbranch_execz .LBB44_9
; %bb.23:                               ;   in Loop: Header=BB44_11 Depth=1
	v_mov_b32_e32 v30, v36
	v_mov_b32_e32 v31, v39
	s_mov_b64 s[44:45], s[34:35]
.LBB44_24:                              ;   Parent Loop BB44_11 Depth=1
                                        ; =>  This Inner Loop Header: Depth=2
	ds_read_b128 v[40:43], v30
	ds_read_b128 v[44:47], v31
	s_add_u32 s44, s44, -1
	s_addc_u32 s45, s45, -1
	v_add_u32_e32 v31, 16, v31
	v_add_u32_e32 v30, 16, v30
	s_waitcnt lgkmcnt(0)
	v_fmac_f64_e32 v[16:17], v[40:41], v[44:45]
	v_fmac_f64_e32 v[18:19], v[42:43], v[44:45]
	s_cmp_lg_u64 s[44:45], 0
	v_fma_f64 v[16:17], -v[42:43], v[46:47], v[16:17]
	v_fmac_f64_e32 v[18:19], v[40:41], v[46:47]
	s_cbranch_scc1 .LBB44_24
	s_branch .LBB44_9
.LBB44_25:
	s_and_b64 s[4:5], s[4:5], s[6:7]
	s_and_b64 exec, exec, s[4:5]
	s_cbranch_execz .LBB44_48
; %bb.26:
	v_mov_b32_e32 v22, s2
	v_mad_u64_u32 v[10:11], s[4:5], s34, v22, v[10:11]
	s_mul_i32 s2, s35, s2
	v_add_u32_e32 v11, s2, v11
	s_load_dwordx2 s[2:3], s[0:1], 0x88
	v_cmp_neq_f64_e32 vcc, 0, v[6:7]
	v_cmp_neq_f64_e64 s[0:1], 0, v[8:9]
	s_or_b64 s[4:5], vcc, s[0:1]
	s_cmp_lg_u32 s16, 1
	s_waitcnt lgkmcnt(0)
	v_mul_lo_u32 v24, s3, v10
	v_mul_lo_u32 v25, s2, v11
	v_mad_u64_u32 v[22:23], s[6:7], s2, v10, 0
	v_add3_u32 v23, v23, v25, v24
	s_cselect_b64 s[0:1], -1, 0
	v_lshl_add_u64 v[24:25], v[22:23], 4, s[18:19]
	v_lshl_add_u64 v[22:23], v[10:11], 4, s[18:19]
	v_cmp_gt_i64_e32 vcc, s[14:15], v[20:21]
	s_and_saveexec_b64 s[6:7], vcc
	s_cbranch_execz .LBB44_37
; %bb.27:
	s_and_saveexec_b64 s[8:9], s[4:5]
	s_xor_b64 s[8:9], exec, s[8:9]
	s_cbranch_execz .LBB44_32
; %bb.28:
	s_mov_b64 s[10:11], -1
	s_and_b64 vcc, exec, s[0:1]
	s_cbranch_vccz .LBB44_30
; %bb.29:
	v_lshl_add_u64 v[10:11], v[20:21], 4, v[24:25]
	global_load_dwordx4 v[26:29], v[10:11], off
	v_mul_f64 v[30:31], v[12:13], -v[4:5]
	v_mul_f64 v[32:33], v[2:3], v[12:13]
	v_fmac_f64_e32 v[30:31], v[2:3], v[0:1]
	v_fmac_f64_e32 v[32:33], v[4:5], v[0:1]
	s_mov_b64 s[10:11], 0
	s_waitcnt vmcnt(0)
	v_fmac_f64_e32 v[30:31], v[6:7], v[26:27]
	v_fmac_f64_e32 v[32:33], v[8:9], v[26:27]
	v_fma_f64 v[30:31], -v[8:9], v[28:29], v[30:31]
	v_fmac_f64_e32 v[32:33], v[6:7], v[28:29]
	global_store_dwordx4 v[10:11], v[30:33], off
.LBB44_30:
	s_andn2_b64 vcc, exec, s[10:11]
	s_cbranch_vccnz .LBB44_32
; %bb.31:
	v_mad_u64_u32 v[10:11], s[10:11], s2, v20, 0
	v_mov_b32_e32 v26, v11
	v_mad_u64_u32 v[20:21], s[10:11], s3, v20, v[26:27]
	v_mov_b32_e32 v11, v20
	v_lshl_add_u64 v[20:21], v[10:11], 4, v[22:23]
	global_load_dwordx4 v[26:29], v[20:21], off
	v_mul_f64 v[10:11], v[12:13], -v[4:5]
	v_mul_f64 v[12:13], v[2:3], v[12:13]
	v_fmac_f64_e32 v[10:11], v[2:3], v[0:1]
	v_fmac_f64_e32 v[12:13], v[4:5], v[0:1]
                                        ; implicit-def: $vgpr0_vgpr1
	s_waitcnt vmcnt(0)
	v_fmac_f64_e32 v[10:11], v[6:7], v[26:27]
	v_fmac_f64_e32 v[12:13], v[8:9], v[26:27]
	v_fma_f64 v[10:11], -v[8:9], v[28:29], v[10:11]
	v_fmac_f64_e32 v[12:13], v[6:7], v[28:29]
	global_store_dwordx4 v[20:21], v[10:13], off
                                        ; implicit-def: $vgpr20_vgpr21
                                        ; implicit-def: $vgpr12_vgpr13
.LBB44_32:
	s_andn2_saveexec_b64 s[8:9], s[8:9]
	s_cbranch_execz .LBB44_37
; %bb.33:
	v_mul_f64 v[10:11], v[12:13], -v[4:5]
	v_mul_f64 v[12:13], v[2:3], v[12:13]
	v_fmac_f64_e32 v[10:11], v[2:3], v[0:1]
	v_fmac_f64_e32 v[12:13], v[4:5], v[0:1]
	s_mov_b64 s[8:9], -1
	s_and_b64 vcc, exec, s[0:1]
	s_cbranch_vccz .LBB44_35
; %bb.34:
	v_lshl_add_u64 v[0:1], v[20:21], 4, v[24:25]
	global_store_dwordx4 v[0:1], v[10:13], off
	s_mov_b64 s[8:9], 0
.LBB44_35:
	s_andn2_b64 vcc, exec, s[8:9]
	s_cbranch_vccnz .LBB44_37
; %bb.36:
	v_mad_u64_u32 v[0:1], s[8:9], s2, v20, 0
	v_mov_b32_e32 v26, v1
	v_mad_u64_u32 v[20:21], s[8:9], s3, v20, v[26:27]
	v_mov_b32_e32 v1, v20
	v_lshl_add_u64 v[0:1], v[0:1], 4, v[22:23]
	global_store_dwordx4 v[0:1], v[10:13], off
.LBB44_37:
	s_or_b64 exec, exec, s[6:7]
	v_cmp_gt_i64_e32 vcc, s[14:15], v[14:15]
	s_and_b64 exec, exec, vcc
	s_cbranch_execz .LBB44_48
; %bb.38:
	v_cndmask_b32_e64 v0, 0, 1, s[0:1]
	v_cmp_ne_u32_e64 s[0:1], 1, v0
	s_and_saveexec_b64 s[6:7], s[4:5]
	s_xor_b64 s[4:5], exec, s[6:7]
	s_cbranch_execz .LBB44_43
; %bb.39:
	s_and_b64 vcc, exec, s[0:1]
	s_mov_b64 s[6:7], -1
	s_cbranch_vccnz .LBB44_41
; %bb.40:
	v_lshl_add_u64 v[0:1], v[14:15], 4, v[24:25]
	global_load_dwordx4 v[10:13], v[0:1], off
	v_mul_f64 v[20:21], v[18:19], -v[4:5]
	v_mul_f64 v[26:27], v[2:3], v[18:19]
	v_fmac_f64_e32 v[20:21], v[2:3], v[16:17]
	v_fmac_f64_e32 v[26:27], v[4:5], v[16:17]
	s_mov_b64 s[6:7], 0
	s_waitcnt vmcnt(0)
	v_fmac_f64_e32 v[20:21], v[6:7], v[10:11]
	v_fmac_f64_e32 v[26:27], v[8:9], v[10:11]
	v_fma_f64 v[24:25], -v[8:9], v[12:13], v[20:21]
	v_fmac_f64_e32 v[26:27], v[6:7], v[12:13]
	global_store_dwordx4 v[0:1], v[24:27], off
.LBB44_41:
	s_andn2_b64 vcc, exec, s[6:7]
                                        ; implicit-def: $vgpr24_vgpr25
	s_cbranch_vccnz .LBB44_43
; %bb.42:
	v_mad_u64_u32 v[0:1], s[6:7], s2, v14, 0
	v_mov_b32_e32 v10, v1
	v_mad_u64_u32 v[10:11], s[6:7], s3, v14, v[10:11]
	v_mov_b32_e32 v1, v10
	v_lshl_add_u64 v[0:1], v[0:1], 4, v[22:23]
	global_load_dwordx4 v[10:13], v[0:1], off
	v_mul_f64 v[14:15], v[18:19], -v[4:5]
	v_mul_f64 v[18:19], v[2:3], v[18:19]
	v_fmac_f64_e32 v[14:15], v[2:3], v[16:17]
	v_fmac_f64_e32 v[18:19], v[4:5], v[16:17]
                                        ; implicit-def: $vgpr22_vgpr23
                                        ; implicit-def: $vgpr4_vgpr5
                                        ; implicit-def: $vgpr24_vgpr25
	s_waitcnt vmcnt(0)
	v_fmac_f64_e32 v[14:15], v[6:7], v[10:11]
	v_fmac_f64_e32 v[18:19], v[8:9], v[10:11]
	v_fma_f64 v[16:17], -v[8:9], v[12:13], v[14:15]
	v_fmac_f64_e32 v[18:19], v[6:7], v[12:13]
	global_store_dwordx4 v[0:1], v[16:19], off
                                        ; implicit-def: $vgpr14_vgpr15
                                        ; implicit-def: $vgpr18_vgpr19
                                        ; implicit-def: $vgpr16_vgpr17
.LBB44_43:
	s_andn2_saveexec_b64 s[4:5], s[4:5]
	s_cbranch_execz .LBB44_48
; %bb.44:
	v_mul_f64 v[0:1], v[18:19], -v[4:5]
	v_fmac_f64_e32 v[0:1], v[2:3], v[16:17]
	v_mul_f64 v[2:3], v[2:3], v[18:19]
	v_fmac_f64_e32 v[2:3], v[4:5], v[16:17]
	s_and_b64 vcc, exec, s[0:1]
	s_mov_b64 s[0:1], -1
	s_cbranch_vccnz .LBB44_46
; %bb.45:
	v_lshl_add_u64 v[4:5], v[14:15], 4, v[24:25]
	s_mov_b64 s[0:1], 0
	global_store_dwordx4 v[4:5], v[0:3], off
.LBB44_46:
	s_andn2_b64 vcc, exec, s[0:1]
	s_cbranch_vccnz .LBB44_48
; %bb.47:
	v_mad_u64_u32 v[4:5], s[0:1], s2, v14, 0
	v_mov_b32_e32 v6, v5
	v_mad_u64_u32 v[6:7], s[0:1], s3, v14, v[6:7]
	v_mov_b32_e32 v5, v6
	v_lshl_add_u64 v[4:5], v[4:5], 4, v[22:23]
	global_store_dwordx4 v[4:5], v[0:3], off
.LBB44_48:
	s_endpgm
	.section	.rodata,"a",@progbits
	.p2align	6, 0x0
	.amdhsa_kernel _ZN9rocsparseL31bsrmm_large_blockdim_kernel_extILj8ELj8ELj2Ell21rocsparse_complex_numIdES2_S2_S2_EEvb20rocsparse_direction_T3_S4_llNS_24const_host_device_scalarIT7_EEPKT2_PKS4_PKT4_S4_PKT5_llS7_PT6_ll16rocsparse_order_21rocsparse_index_base_b
		.amdhsa_group_segment_fixed_size 3072
		.amdhsa_private_segment_fixed_size 0
		.amdhsa_kernarg_size 164
		.amdhsa_user_sgpr_count 2
		.amdhsa_user_sgpr_dispatch_ptr 0
		.amdhsa_user_sgpr_queue_ptr 0
		.amdhsa_user_sgpr_kernarg_segment_ptr 1
		.amdhsa_user_sgpr_dispatch_id 0
		.amdhsa_user_sgpr_kernarg_preload_length 0
		.amdhsa_user_sgpr_kernarg_preload_offset 0
		.amdhsa_user_sgpr_private_segment_size 0
		.amdhsa_uses_dynamic_stack 0
		.amdhsa_enable_private_segment 0
		.amdhsa_system_sgpr_workgroup_id_x 1
		.amdhsa_system_sgpr_workgroup_id_y 1
		.amdhsa_system_sgpr_workgroup_id_z 0
		.amdhsa_system_sgpr_workgroup_info 0
		.amdhsa_system_vgpr_workitem_id 1
		.amdhsa_next_free_vgpr 48
		.amdhsa_next_free_sgpr 47
		.amdhsa_accum_offset 48
		.amdhsa_reserve_vcc 1
		.amdhsa_float_round_mode_32 0
		.amdhsa_float_round_mode_16_64 0
		.amdhsa_float_denorm_mode_32 3
		.amdhsa_float_denorm_mode_16_64 3
		.amdhsa_dx10_clamp 1
		.amdhsa_ieee_mode 1
		.amdhsa_fp16_overflow 0
		.amdhsa_tg_split 0
		.amdhsa_exception_fp_ieee_invalid_op 0
		.amdhsa_exception_fp_denorm_src 0
		.amdhsa_exception_fp_ieee_div_zero 0
		.amdhsa_exception_fp_ieee_overflow 0
		.amdhsa_exception_fp_ieee_underflow 0
		.amdhsa_exception_fp_ieee_inexact 0
		.amdhsa_exception_int_div_zero 0
	.end_amdhsa_kernel
	.section	.text._ZN9rocsparseL31bsrmm_large_blockdim_kernel_extILj8ELj8ELj2Ell21rocsparse_complex_numIdES2_S2_S2_EEvb20rocsparse_direction_T3_S4_llNS_24const_host_device_scalarIT7_EEPKT2_PKS4_PKT4_S4_PKT5_llS7_PT6_ll16rocsparse_order_21rocsparse_index_base_b,"axG",@progbits,_ZN9rocsparseL31bsrmm_large_blockdim_kernel_extILj8ELj8ELj2Ell21rocsparse_complex_numIdES2_S2_S2_EEvb20rocsparse_direction_T3_S4_llNS_24const_host_device_scalarIT7_EEPKT2_PKS4_PKT4_S4_PKT5_llS7_PT6_ll16rocsparse_order_21rocsparse_index_base_b,comdat
.Lfunc_end44:
	.size	_ZN9rocsparseL31bsrmm_large_blockdim_kernel_extILj8ELj8ELj2Ell21rocsparse_complex_numIdES2_S2_S2_EEvb20rocsparse_direction_T3_S4_llNS_24const_host_device_scalarIT7_EEPKT2_PKS4_PKT4_S4_PKT5_llS7_PT6_ll16rocsparse_order_21rocsparse_index_base_b, .Lfunc_end44-_ZN9rocsparseL31bsrmm_large_blockdim_kernel_extILj8ELj8ELj2Ell21rocsparse_complex_numIdES2_S2_S2_EEvb20rocsparse_direction_T3_S4_llNS_24const_host_device_scalarIT7_EEPKT2_PKS4_PKT4_S4_PKT5_llS7_PT6_ll16rocsparse_order_21rocsparse_index_base_b
                                        ; -- End function
	.set _ZN9rocsparseL31bsrmm_large_blockdim_kernel_extILj8ELj8ELj2Ell21rocsparse_complex_numIdES2_S2_S2_EEvb20rocsparse_direction_T3_S4_llNS_24const_host_device_scalarIT7_EEPKT2_PKS4_PKT4_S4_PKT5_llS7_PT6_ll16rocsparse_order_21rocsparse_index_base_b.num_vgpr, 48
	.set _ZN9rocsparseL31bsrmm_large_blockdim_kernel_extILj8ELj8ELj2Ell21rocsparse_complex_numIdES2_S2_S2_EEvb20rocsparse_direction_T3_S4_llNS_24const_host_device_scalarIT7_EEPKT2_PKS4_PKT4_S4_PKT5_llS7_PT6_ll16rocsparse_order_21rocsparse_index_base_b.num_agpr, 0
	.set _ZN9rocsparseL31bsrmm_large_blockdim_kernel_extILj8ELj8ELj2Ell21rocsparse_complex_numIdES2_S2_S2_EEvb20rocsparse_direction_T3_S4_llNS_24const_host_device_scalarIT7_EEPKT2_PKS4_PKT4_S4_PKT5_llS7_PT6_ll16rocsparse_order_21rocsparse_index_base_b.numbered_sgpr, 47
	.set _ZN9rocsparseL31bsrmm_large_blockdim_kernel_extILj8ELj8ELj2Ell21rocsparse_complex_numIdES2_S2_S2_EEvb20rocsparse_direction_T3_S4_llNS_24const_host_device_scalarIT7_EEPKT2_PKS4_PKT4_S4_PKT5_llS7_PT6_ll16rocsparse_order_21rocsparse_index_base_b.num_named_barrier, 0
	.set _ZN9rocsparseL31bsrmm_large_blockdim_kernel_extILj8ELj8ELj2Ell21rocsparse_complex_numIdES2_S2_S2_EEvb20rocsparse_direction_T3_S4_llNS_24const_host_device_scalarIT7_EEPKT2_PKS4_PKT4_S4_PKT5_llS7_PT6_ll16rocsparse_order_21rocsparse_index_base_b.private_seg_size, 0
	.set _ZN9rocsparseL31bsrmm_large_blockdim_kernel_extILj8ELj8ELj2Ell21rocsparse_complex_numIdES2_S2_S2_EEvb20rocsparse_direction_T3_S4_llNS_24const_host_device_scalarIT7_EEPKT2_PKS4_PKT4_S4_PKT5_llS7_PT6_ll16rocsparse_order_21rocsparse_index_base_b.uses_vcc, 1
	.set _ZN9rocsparseL31bsrmm_large_blockdim_kernel_extILj8ELj8ELj2Ell21rocsparse_complex_numIdES2_S2_S2_EEvb20rocsparse_direction_T3_S4_llNS_24const_host_device_scalarIT7_EEPKT2_PKS4_PKT4_S4_PKT5_llS7_PT6_ll16rocsparse_order_21rocsparse_index_base_b.uses_flat_scratch, 0
	.set _ZN9rocsparseL31bsrmm_large_blockdim_kernel_extILj8ELj8ELj2Ell21rocsparse_complex_numIdES2_S2_S2_EEvb20rocsparse_direction_T3_S4_llNS_24const_host_device_scalarIT7_EEPKT2_PKS4_PKT4_S4_PKT5_llS7_PT6_ll16rocsparse_order_21rocsparse_index_base_b.has_dyn_sized_stack, 0
	.set _ZN9rocsparseL31bsrmm_large_blockdim_kernel_extILj8ELj8ELj2Ell21rocsparse_complex_numIdES2_S2_S2_EEvb20rocsparse_direction_T3_S4_llNS_24const_host_device_scalarIT7_EEPKT2_PKS4_PKT4_S4_PKT5_llS7_PT6_ll16rocsparse_order_21rocsparse_index_base_b.has_recursion, 0
	.set _ZN9rocsparseL31bsrmm_large_blockdim_kernel_extILj8ELj8ELj2Ell21rocsparse_complex_numIdES2_S2_S2_EEvb20rocsparse_direction_T3_S4_llNS_24const_host_device_scalarIT7_EEPKT2_PKS4_PKT4_S4_PKT5_llS7_PT6_ll16rocsparse_order_21rocsparse_index_base_b.has_indirect_call, 0
	.section	.AMDGPU.csdata,"",@progbits
; Kernel info:
; codeLenInByte = 2056
; TotalNumSgprs: 53
; NumVgprs: 48
; NumAgprs: 0
; TotalNumVgprs: 48
; ScratchSize: 0
; MemoryBound: 0
; FloatMode: 240
; IeeeMode: 1
; LDSByteSize: 3072 bytes/workgroup (compile time only)
; SGPRBlocks: 6
; VGPRBlocks: 5
; NumSGPRsForWavesPerEU: 53
; NumVGPRsForWavesPerEU: 48
; AccumOffset: 48
; Occupancy: 8
; WaveLimiterHint : 1
; COMPUTE_PGM_RSRC2:SCRATCH_EN: 0
; COMPUTE_PGM_RSRC2:USER_SGPR: 2
; COMPUTE_PGM_RSRC2:TRAP_HANDLER: 0
; COMPUTE_PGM_RSRC2:TGID_X_EN: 1
; COMPUTE_PGM_RSRC2:TGID_Y_EN: 1
; COMPUTE_PGM_RSRC2:TGID_Z_EN: 0
; COMPUTE_PGM_RSRC2:TIDIG_COMP_CNT: 1
; COMPUTE_PGM_RSRC3_GFX90A:ACCUM_OFFSET: 11
; COMPUTE_PGM_RSRC3_GFX90A:TG_SPLIT: 0
	.section	.text._ZN9rocsparseL31bsrmm_large_blockdim_kernel_extILj4ELj16ELj2Ell21rocsparse_complex_numIdES2_S2_S2_EEvb20rocsparse_direction_T3_S4_llNS_24const_host_device_scalarIT7_EEPKT2_PKS4_PKT4_S4_PKT5_llS7_PT6_ll16rocsparse_order_21rocsparse_index_base_b,"axG",@progbits,_ZN9rocsparseL31bsrmm_large_blockdim_kernel_extILj4ELj16ELj2Ell21rocsparse_complex_numIdES2_S2_S2_EEvb20rocsparse_direction_T3_S4_llNS_24const_host_device_scalarIT7_EEPKT2_PKS4_PKT4_S4_PKT5_llS7_PT6_ll16rocsparse_order_21rocsparse_index_base_b,comdat
	.globl	_ZN9rocsparseL31bsrmm_large_blockdim_kernel_extILj4ELj16ELj2Ell21rocsparse_complex_numIdES2_S2_S2_EEvb20rocsparse_direction_T3_S4_llNS_24const_host_device_scalarIT7_EEPKT2_PKS4_PKT4_S4_PKT5_llS7_PT6_ll16rocsparse_order_21rocsparse_index_base_b ; -- Begin function _ZN9rocsparseL31bsrmm_large_blockdim_kernel_extILj4ELj16ELj2Ell21rocsparse_complex_numIdES2_S2_S2_EEvb20rocsparse_direction_T3_S4_llNS_24const_host_device_scalarIT7_EEPKT2_PKS4_PKT4_S4_PKT5_llS7_PT6_ll16rocsparse_order_21rocsparse_index_base_b
	.p2align	8
	.type	_ZN9rocsparseL31bsrmm_large_blockdim_kernel_extILj4ELj16ELj2Ell21rocsparse_complex_numIdES2_S2_S2_EEvb20rocsparse_direction_T3_S4_llNS_24const_host_device_scalarIT7_EEPKT2_PKS4_PKT4_S4_PKT5_llS7_PT6_ll16rocsparse_order_21rocsparse_index_base_b,@function
_ZN9rocsparseL31bsrmm_large_blockdim_kernel_extILj4ELj16ELj2Ell21rocsparse_complex_numIdES2_S2_S2_EEvb20rocsparse_direction_T3_S4_llNS_24const_host_device_scalarIT7_EEPKT2_PKS4_PKT4_S4_PKT5_llS7_PT6_ll16rocsparse_order_21rocsparse_index_base_b: ; @_ZN9rocsparseL31bsrmm_large_blockdim_kernel_extILj4ELj16ELj2Ell21rocsparse_complex_numIdES2_S2_S2_EEvb20rocsparse_direction_T3_S4_llNS_24const_host_device_scalarIT7_EEPKT2_PKS4_PKT4_S4_PKT5_llS7_PT6_ll16rocsparse_order_21rocsparse_index_base_b
; %bb.0:
	s_load_dwordx2 s[4:5], s[0:1], 0x28
	s_load_dwordx4 s[16:19], s[0:1], 0x98
	s_mov_b32 s6, s3
	s_add_u32 s3, s0, 40
	s_addc_u32 s7, s1, 0
	s_add_u32 s10, s0, 0x70
	s_load_dwordx2 s[8:9], s[0:1], 0x70
	s_addc_u32 s11, s1, 0
	s_waitcnt lgkmcnt(0)
	s_bitcmp1_b32 s18, 0
	s_cselect_b32 s5, s7, s5
	s_cselect_b32 s3, s3, s4
	v_mov_b32_e32 v2, s3
	v_mov_b32_e32 v3, s5
	flat_load_dwordx4 v[2:5], v[2:3]
	s_cselect_b32 s3, s11, s9
	s_cselect_b32 s4, s10, s8
	v_mov_b32_e32 v6, s4
	v_mov_b32_e32 v7, s3
	flat_load_dwordx4 v[6:9], v[6:7]
	s_waitcnt vmcnt(0) lgkmcnt(0)
	v_cmp_eq_f64_e32 vcc, 0, v[2:3]
	v_cmp_eq_f64_e64 s[4:5], 0, v[4:5]
	s_and_b64 s[10:11], vcc, s[4:5]
	s_mov_b64 s[4:5], -1
	s_and_saveexec_b64 s[8:9], s[10:11]
; %bb.1:
	v_cmp_neq_f64_e32 vcc, 1.0, v[6:7]
	v_cmp_neq_f64_e64 s[4:5], 0, v[8:9]
	s_or_b64 s[4:5], vcc, s[4:5]
	s_orn2_b64 s[4:5], s[4:5], exec
; %bb.2:
	s_or_b64 exec, exec, s[8:9]
	s_and_saveexec_b64 s[8:9], s[4:5]
	s_cbranch_execz .LBB45_48
; %bb.3:
	s_load_dwordx4 s[12:15], s[0:1], 0x8
	s_load_dwordx2 s[8:9], s[0:1], 0x38
	s_ashr_i32 s3, s2, 31
	v_mov_b64_e32 v[10:11], s[2:3]
	s_mov_b64 s[28:29], 0
	s_waitcnt lgkmcnt(0)
	v_cmp_le_i64_e32 vcc, s[12:13], v[10:11]
	v_cmp_gt_i64_e64 s[4:5], s[12:13], v[10:11]
	s_mov_b64 s[30:31], 0
	s_cbranch_vccnz .LBB45_5
; %bb.4:
	s_lshl_b64 s[10:11], s[2:3], 3
	s_add_u32 s10, s8, s10
	s_addc_u32 s11, s9, s11
	s_load_dwordx2 s[10:11], s[10:11], 0x0
	s_waitcnt lgkmcnt(0)
	s_sub_u32 s30, s10, s17
	s_subb_u32 s31, s11, 0
.LBB45_5:
	s_andn2_b64 vcc, exec, s[4:5]
	s_cbranch_vccnz .LBB45_7
; %bb.6:
	s_lshl_b64 s[10:11], s[2:3], 3
	s_add_u32 s8, s8, s10
	s_addc_u32 s9, s9, s11
	s_load_dwordx2 s[8:9], s[8:9], 0x8
	s_waitcnt lgkmcnt(0)
	s_sub_u32 s28, s8, s17
	s_subb_u32 s29, s9, 0
.LBB45_7:
	s_load_dwordx2 s[18:19], s[0:1], 0x80
	s_load_dwordx2 s[34:35], s[0:1], 0x50
	v_bfe_u32 v24, v0, 10, 10
	v_lshl_add_u32 v20, s6, 5, v24
	v_mov_b32_e32 v21, 0
	v_and_b32_e32 v10, 0x3ff, v0
	v_mov_b64_e32 v[0:1], s[28:29]
	v_add_u32_e32 v14, 16, v20
	v_mov_b32_e32 v15, v21
	v_mov_b32_e32 v11, v21
	v_cmp_ge_i64_e32 vcc, s[30:31], v[0:1]
	s_waitcnt lgkmcnt(0)
	v_cmp_gt_i64_e64 s[6:7], s[34:35], v[10:11]
	v_mov_b64_e32 v[0:1], 0
	s_and_b64 vcc, exec, vcc
	v_cmp_gt_i64_e64 s[8:9], s[14:15], v[20:21]
	v_cmp_gt_i64_e64 s[10:11], s[14:15], v[14:15]
	v_mov_b64_e32 v[12:13], 0
	v_mov_b64_e32 v[16:17], 0
	;; [unrolled: 1-line block ×3, first 2 shown]
	s_cbranch_vccnz .LBB45_25
; %bb.8:
	s_load_dwordx4 s[24:27], s[0:1], 0x40
	s_load_dwordx2 s[38:39], s[0:1], 0x0
	s_mul_i32 s3, s34, s35
	s_mul_hi_u32 s12, s34, s34
	v_mov_b32_e32 v25, v21
	s_add_i32 s12, s12, s3
	v_cmp_gt_i64_e32 vcc, s[34:35], v[24:25]
	s_add_i32 s3, s12, s3
	s_and_b64 s[36:37], s[6:7], vcc
	s_waitcnt lgkmcnt(0)
	s_bitcmp1_b32 s38, 0
	s_load_dwordx4 s[20:23], s[0:1], 0x58
	s_cselect_b64 s[12:13], -1, 0
	s_cmp_eq_u32 s39, 0
	v_mad_u64_u32 v[16:17], s[38:39], s34, v24, 0
	v_mov_b32_e32 v18, v17
	v_mad_u64_u32 v[18:19], s[38:39], s35, v24, v[18:19]
	v_mov_b32_e32 v17, v18
	v_lshlrev_b32_e32 v12, 4, v10
	v_mov_b32_e32 v13, v21
	v_lshlrev_b32_e32 v34, 6, v24
	v_lshl_add_u64 v[16:17], v[16:17], 4, s[26:27]
	s_waitcnt lgkmcnt(0)
	v_lshl_add_u64 v[22:23], s[20:21], 0, v[12:13]
	v_add_u32_e32 v35, v34, v12
	v_lshl_add_u64 v[12:13], v[16:17], 0, v[12:13]
	v_mad_u64_u32 v[16:17], s[38:39], s34, v10, 0
	v_mov_b32_e32 v18, v17
	v_mad_u64_u32 v[18:19], s[38:39], s35, v10, v[18:19]
	v_mov_b32_e32 v17, v18
	v_lshlrev_b32_e32 v0, 4, v24
	v_lshl_add_u64 v[16:17], v[16:17], 4, s[26:27]
	v_mov_b32_e32 v1, v21
	v_lshl_add_u64 v[16:17], v[16:17], 0, v[0:1]
	v_mov_b32_e32 v1, 0x800
	v_lshl_add_u32 v36, v10, 6, v1
	v_mad_u64_u32 v[24:25], s[26:27], s22, v20, 0
	v_add_u32_e32 v37, v36, v0
	v_mov_b32_e32 v0, v25
	v_mad_u64_u32 v[0:1], s[26:27], s23, v20, v[0:1]
	v_mad_u64_u32 v[26:27], s[26:27], s22, v14, 0
	v_mov_b32_e32 v25, v0
	v_mov_b32_e32 v0, v27
	s_cselect_b64 vcc, -1, 0
	v_cmp_gt_i64_e64 s[38:39], s[34:35], 0
	v_mad_u64_u32 v[0:1], s[26:27], s23, v14, v[0:1]
	s_mul_i32 s33, s34, s34
	v_add_u32_e32 v38, 0x400, v35
	v_mov_b32_e32 v27, v0
	s_and_b64 s[26:27], s[8:9], s[38:39]
	s_and_b64 s[38:39], s[10:11], s[38:39]
	v_cndmask_b32_e32 v29, v13, v17, vcc
	v_cndmask_b32_e32 v28, v12, v16, vcc
	v_add_u32_e32 v39, 0x400, v34
	v_mov_b64_e32 v[18:19], 0
	v_mov_b64_e32 v[16:17], 0
	;; [unrolled: 1-line block ×4, first 2 shown]
	s_branch .LBB45_11
.LBB45_9:                               ;   in Loop: Header=BB45_11 Depth=1
	s_or_b64 exec, exec, s[42:43]
.LBB45_10:                              ;   in Loop: Header=BB45_11 Depth=1
	s_or_b64 exec, exec, s[40:41]
	s_add_u32 s30, s30, 1
	s_addc_u32 s31, s31, 0
	v_mov_b64_e32 v[30:31], s[28:29]
	v_cmp_ge_i64_e32 vcc, s[30:31], v[30:31]
	; wave barrier
	s_cbranch_vccnz .LBB45_25
.LBB45_11:                              ; =>This Loop Header: Depth=1
                                        ;     Child Loop BB45_21 Depth 2
                                        ;     Child Loop BB45_24 Depth 2
	s_and_saveexec_b64 s[40:41], s[6:7]
	s_cbranch_execz .LBB45_16
; %bb.12:                               ;   in Loop: Header=BB45_11 Depth=1
	s_lshl_b64 s[42:43], s[30:31], 3
	s_add_u32 s42, s24, s42
	s_addc_u32 s43, s25, s43
	s_load_dwordx2 s[42:43], s[42:43], 0x0
	v_mov_b32_e32 v30, s34
	s_waitcnt lgkmcnt(0)
	s_sub_u32 s44, s42, s17
	s_subb_u32 s43, s43, 0
	s_mul_i32 s46, s44, s35
	s_mul_i32 s43, s43, s34
	s_mul_hi_u32 s45, s44, s34
	s_add_i32 s46, s46, s43
	s_mul_i32 s42, s44, s34
	s_add_i32 s43, s46, s45
	v_mad_u64_u32 v[30:31], s[44:45], s44, v30, v[10:11]
	v_add_u32_e32 v31, s46, v31
	v_mul_lo_u32 v32, v31, s22
	v_mul_lo_u32 v33, v30, s23
	v_mad_u64_u32 v[30:31], s[44:45], v30, s22, 0
	v_add3_u32 v31, v31, v33, v32
	v_lshl_add_u64 v[30:31], v[30:31], 4, s[20:21]
	v_lshl_add_u64 v[32:33], s[42:43], 4, v[22:23]
	s_and_saveexec_b64 s[42:43], s[8:9]
	s_cbranch_execz .LBB45_14
; %bb.13:                               ;   in Loop: Header=BB45_11 Depth=1
	v_lshl_add_u64 v[40:41], v[24:25], 4, v[32:33]
	v_lshl_add_u64 v[42:43], v[20:21], 4, v[30:31]
	v_cndmask_b32_e64 v41, v43, v41, s[12:13]
	v_cndmask_b32_e64 v40, v42, v40, s[12:13]
	global_load_dwordx4 v[40:43], v[40:41], off
	s_waitcnt vmcnt(0)
	ds_write2_b64 v35, v[40:41], v[42:43] offset1:1
.LBB45_14:                              ;   in Loop: Header=BB45_11 Depth=1
	s_or_b64 exec, exec, s[42:43]
	s_and_b64 exec, exec, s[10:11]
	s_cbranch_execz .LBB45_16
; %bb.15:                               ;   in Loop: Header=BB45_11 Depth=1
	v_lshl_add_u64 v[32:33], v[26:27], 4, v[32:33]
	v_lshl_add_u64 v[30:31], v[14:15], 4, v[30:31]
	v_cndmask_b32_e64 v31, v31, v33, s[12:13]
	v_cndmask_b32_e64 v30, v30, v32, s[12:13]
	global_load_dwordx4 v[30:33], v[30:31], off
	s_waitcnt vmcnt(0)
	ds_write2_b64 v38, v[30:31], v[32:33] offset1:1
.LBB45_16:                              ;   in Loop: Header=BB45_11 Depth=1
	s_or_b64 exec, exec, s[40:41]
	s_and_saveexec_b64 s[40:41], s[36:37]
	s_cbranch_execz .LBB45_18
; %bb.17:                               ;   in Loop: Header=BB45_11 Depth=1
	s_mul_i32 s42, s33, s31
	s_mul_hi_u32 s43, s33, s30
	s_add_i32 s42, s43, s42
	s_mul_i32 s43, s3, s30
	s_add_i32 s43, s42, s43
	s_mul_i32 s42, s33, s30
	v_lshl_add_u64 v[30:31], s[42:43], 4, v[28:29]
	global_load_dwordx4 v[30:33], v[30:31], off
	s_waitcnt vmcnt(0)
	ds_write2_b64 v37, v[30:31], v[32:33] offset1:1
.LBB45_18:                              ;   in Loop: Header=BB45_11 Depth=1
	s_or_b64 exec, exec, s[40:41]
	s_waitcnt lgkmcnt(0)
	; wave barrier
	s_and_saveexec_b64 s[40:41], s[6:7]
	s_cbranch_execz .LBB45_10
; %bb.19:                               ;   in Loop: Header=BB45_11 Depth=1
	s_and_saveexec_b64 s[42:43], s[26:27]
	s_cbranch_execz .LBB45_22
; %bb.20:                               ;   in Loop: Header=BB45_11 Depth=1
	v_mov_b32_e32 v30, v36
	v_mov_b32_e32 v31, v34
	s_mov_b64 s[44:45], s[34:35]
.LBB45_21:                              ;   Parent Loop BB45_11 Depth=1
                                        ; =>  This Inner Loop Header: Depth=2
	ds_read_b128 v[40:43], v30
	ds_read_b128 v[44:47], v31
	s_add_u32 s44, s44, -1
	s_addc_u32 s45, s45, -1
	v_add_u32_e32 v31, 16, v31
	v_add_u32_e32 v30, 16, v30
	s_waitcnt lgkmcnt(0)
	v_fmac_f64_e32 v[0:1], v[40:41], v[44:45]
	v_fmac_f64_e32 v[12:13], v[42:43], v[44:45]
	s_cmp_lg_u64 s[44:45], 0
	v_fma_f64 v[0:1], -v[42:43], v[46:47], v[0:1]
	v_fmac_f64_e32 v[12:13], v[40:41], v[46:47]
	s_cbranch_scc1 .LBB45_21
.LBB45_22:                              ;   in Loop: Header=BB45_11 Depth=1
	s_or_b64 exec, exec, s[42:43]
	s_and_saveexec_b64 s[42:43], s[38:39]
	s_cbranch_execz .LBB45_9
; %bb.23:                               ;   in Loop: Header=BB45_11 Depth=1
	v_mov_b32_e32 v30, v36
	v_mov_b32_e32 v31, v39
	s_mov_b64 s[44:45], s[34:35]
.LBB45_24:                              ;   Parent Loop BB45_11 Depth=1
                                        ; =>  This Inner Loop Header: Depth=2
	ds_read_b128 v[40:43], v30
	ds_read_b128 v[44:47], v31
	s_add_u32 s44, s44, -1
	s_addc_u32 s45, s45, -1
	v_add_u32_e32 v31, 16, v31
	v_add_u32_e32 v30, 16, v30
	s_waitcnt lgkmcnt(0)
	v_fmac_f64_e32 v[16:17], v[40:41], v[44:45]
	v_fmac_f64_e32 v[18:19], v[42:43], v[44:45]
	s_cmp_lg_u64 s[44:45], 0
	v_fma_f64 v[16:17], -v[42:43], v[46:47], v[16:17]
	v_fmac_f64_e32 v[18:19], v[40:41], v[46:47]
	s_cbranch_scc1 .LBB45_24
	s_branch .LBB45_9
.LBB45_25:
	s_and_b64 s[4:5], s[4:5], s[6:7]
	s_and_b64 exec, exec, s[4:5]
	s_cbranch_execz .LBB45_48
; %bb.26:
	v_mov_b32_e32 v22, s2
	v_mad_u64_u32 v[10:11], s[4:5], s34, v22, v[10:11]
	s_mul_i32 s2, s35, s2
	v_add_u32_e32 v11, s2, v11
	s_load_dwordx2 s[2:3], s[0:1], 0x88
	v_cmp_neq_f64_e32 vcc, 0, v[6:7]
	v_cmp_neq_f64_e64 s[0:1], 0, v[8:9]
	s_or_b64 s[4:5], vcc, s[0:1]
	s_cmp_lg_u32 s16, 1
	s_waitcnt lgkmcnt(0)
	v_mul_lo_u32 v24, s3, v10
	v_mul_lo_u32 v25, s2, v11
	v_mad_u64_u32 v[22:23], s[6:7], s2, v10, 0
	v_add3_u32 v23, v23, v25, v24
	s_cselect_b64 s[0:1], -1, 0
	v_lshl_add_u64 v[24:25], v[22:23], 4, s[18:19]
	v_lshl_add_u64 v[22:23], v[10:11], 4, s[18:19]
	v_cmp_gt_i64_e32 vcc, s[14:15], v[20:21]
	s_and_saveexec_b64 s[6:7], vcc
	s_cbranch_execz .LBB45_37
; %bb.27:
	s_and_saveexec_b64 s[8:9], s[4:5]
	s_xor_b64 s[8:9], exec, s[8:9]
	s_cbranch_execz .LBB45_32
; %bb.28:
	s_mov_b64 s[10:11], -1
	s_and_b64 vcc, exec, s[0:1]
	s_cbranch_vccz .LBB45_30
; %bb.29:
	v_lshl_add_u64 v[10:11], v[20:21], 4, v[24:25]
	global_load_dwordx4 v[26:29], v[10:11], off
	v_mul_f64 v[30:31], v[12:13], -v[4:5]
	v_mul_f64 v[32:33], v[2:3], v[12:13]
	v_fmac_f64_e32 v[30:31], v[2:3], v[0:1]
	v_fmac_f64_e32 v[32:33], v[4:5], v[0:1]
	s_mov_b64 s[10:11], 0
	s_waitcnt vmcnt(0)
	v_fmac_f64_e32 v[30:31], v[6:7], v[26:27]
	v_fmac_f64_e32 v[32:33], v[8:9], v[26:27]
	v_fma_f64 v[30:31], -v[8:9], v[28:29], v[30:31]
	v_fmac_f64_e32 v[32:33], v[6:7], v[28:29]
	global_store_dwordx4 v[10:11], v[30:33], off
.LBB45_30:
	s_andn2_b64 vcc, exec, s[10:11]
	s_cbranch_vccnz .LBB45_32
; %bb.31:
	v_mad_u64_u32 v[10:11], s[10:11], s2, v20, 0
	v_mov_b32_e32 v26, v11
	v_mad_u64_u32 v[20:21], s[10:11], s3, v20, v[26:27]
	v_mov_b32_e32 v11, v20
	v_lshl_add_u64 v[20:21], v[10:11], 4, v[22:23]
	global_load_dwordx4 v[26:29], v[20:21], off
	v_mul_f64 v[10:11], v[12:13], -v[4:5]
	v_mul_f64 v[12:13], v[2:3], v[12:13]
	v_fmac_f64_e32 v[10:11], v[2:3], v[0:1]
	v_fmac_f64_e32 v[12:13], v[4:5], v[0:1]
                                        ; implicit-def: $vgpr0_vgpr1
	s_waitcnt vmcnt(0)
	v_fmac_f64_e32 v[10:11], v[6:7], v[26:27]
	v_fmac_f64_e32 v[12:13], v[8:9], v[26:27]
	v_fma_f64 v[10:11], -v[8:9], v[28:29], v[10:11]
	v_fmac_f64_e32 v[12:13], v[6:7], v[28:29]
	global_store_dwordx4 v[20:21], v[10:13], off
                                        ; implicit-def: $vgpr20_vgpr21
                                        ; implicit-def: $vgpr12_vgpr13
.LBB45_32:
	s_andn2_saveexec_b64 s[8:9], s[8:9]
	s_cbranch_execz .LBB45_37
; %bb.33:
	v_mul_f64 v[10:11], v[12:13], -v[4:5]
	v_mul_f64 v[12:13], v[2:3], v[12:13]
	v_fmac_f64_e32 v[10:11], v[2:3], v[0:1]
	v_fmac_f64_e32 v[12:13], v[4:5], v[0:1]
	s_mov_b64 s[8:9], -1
	s_and_b64 vcc, exec, s[0:1]
	s_cbranch_vccz .LBB45_35
; %bb.34:
	v_lshl_add_u64 v[0:1], v[20:21], 4, v[24:25]
	global_store_dwordx4 v[0:1], v[10:13], off
	s_mov_b64 s[8:9], 0
.LBB45_35:
	s_andn2_b64 vcc, exec, s[8:9]
	s_cbranch_vccnz .LBB45_37
; %bb.36:
	v_mad_u64_u32 v[0:1], s[8:9], s2, v20, 0
	v_mov_b32_e32 v26, v1
	v_mad_u64_u32 v[20:21], s[8:9], s3, v20, v[26:27]
	v_mov_b32_e32 v1, v20
	v_lshl_add_u64 v[0:1], v[0:1], 4, v[22:23]
	global_store_dwordx4 v[0:1], v[10:13], off
.LBB45_37:
	s_or_b64 exec, exec, s[6:7]
	v_cmp_gt_i64_e32 vcc, s[14:15], v[14:15]
	s_and_b64 exec, exec, vcc
	s_cbranch_execz .LBB45_48
; %bb.38:
	v_cndmask_b32_e64 v0, 0, 1, s[0:1]
	v_cmp_ne_u32_e64 s[0:1], 1, v0
	s_and_saveexec_b64 s[6:7], s[4:5]
	s_xor_b64 s[4:5], exec, s[6:7]
	s_cbranch_execz .LBB45_43
; %bb.39:
	s_and_b64 vcc, exec, s[0:1]
	s_mov_b64 s[6:7], -1
	s_cbranch_vccnz .LBB45_41
; %bb.40:
	v_lshl_add_u64 v[0:1], v[14:15], 4, v[24:25]
	global_load_dwordx4 v[10:13], v[0:1], off
	v_mul_f64 v[20:21], v[18:19], -v[4:5]
	v_mul_f64 v[26:27], v[2:3], v[18:19]
	v_fmac_f64_e32 v[20:21], v[2:3], v[16:17]
	v_fmac_f64_e32 v[26:27], v[4:5], v[16:17]
	s_mov_b64 s[6:7], 0
	s_waitcnt vmcnt(0)
	v_fmac_f64_e32 v[20:21], v[6:7], v[10:11]
	v_fmac_f64_e32 v[26:27], v[8:9], v[10:11]
	v_fma_f64 v[24:25], -v[8:9], v[12:13], v[20:21]
	v_fmac_f64_e32 v[26:27], v[6:7], v[12:13]
	global_store_dwordx4 v[0:1], v[24:27], off
.LBB45_41:
	s_andn2_b64 vcc, exec, s[6:7]
                                        ; implicit-def: $vgpr24_vgpr25
	s_cbranch_vccnz .LBB45_43
; %bb.42:
	v_mad_u64_u32 v[0:1], s[6:7], s2, v14, 0
	v_mov_b32_e32 v10, v1
	v_mad_u64_u32 v[10:11], s[6:7], s3, v14, v[10:11]
	v_mov_b32_e32 v1, v10
	v_lshl_add_u64 v[0:1], v[0:1], 4, v[22:23]
	global_load_dwordx4 v[10:13], v[0:1], off
	v_mul_f64 v[14:15], v[18:19], -v[4:5]
	v_mul_f64 v[18:19], v[2:3], v[18:19]
	v_fmac_f64_e32 v[14:15], v[2:3], v[16:17]
	v_fmac_f64_e32 v[18:19], v[4:5], v[16:17]
                                        ; implicit-def: $vgpr22_vgpr23
                                        ; implicit-def: $vgpr4_vgpr5
                                        ; implicit-def: $vgpr24_vgpr25
	s_waitcnt vmcnt(0)
	v_fmac_f64_e32 v[14:15], v[6:7], v[10:11]
	v_fmac_f64_e32 v[18:19], v[8:9], v[10:11]
	v_fma_f64 v[16:17], -v[8:9], v[12:13], v[14:15]
	v_fmac_f64_e32 v[18:19], v[6:7], v[12:13]
	global_store_dwordx4 v[0:1], v[16:19], off
                                        ; implicit-def: $vgpr14_vgpr15
                                        ; implicit-def: $vgpr18_vgpr19
                                        ; implicit-def: $vgpr16_vgpr17
.LBB45_43:
	s_andn2_saveexec_b64 s[4:5], s[4:5]
	s_cbranch_execz .LBB45_48
; %bb.44:
	v_mul_f64 v[0:1], v[18:19], -v[4:5]
	v_fmac_f64_e32 v[0:1], v[2:3], v[16:17]
	v_mul_f64 v[2:3], v[2:3], v[18:19]
	v_fmac_f64_e32 v[2:3], v[4:5], v[16:17]
	s_and_b64 vcc, exec, s[0:1]
	s_mov_b64 s[0:1], -1
	s_cbranch_vccnz .LBB45_46
; %bb.45:
	v_lshl_add_u64 v[4:5], v[14:15], 4, v[24:25]
	s_mov_b64 s[0:1], 0
	global_store_dwordx4 v[4:5], v[0:3], off
.LBB45_46:
	s_andn2_b64 vcc, exec, s[0:1]
	s_cbranch_vccnz .LBB45_48
; %bb.47:
	v_mad_u64_u32 v[4:5], s[0:1], s2, v14, 0
	v_mov_b32_e32 v6, v5
	v_mad_u64_u32 v[6:7], s[0:1], s3, v14, v[6:7]
	v_mov_b32_e32 v5, v6
	v_lshl_add_u64 v[4:5], v[4:5], 4, v[22:23]
	global_store_dwordx4 v[4:5], v[0:3], off
.LBB45_48:
	s_endpgm
	.section	.rodata,"a",@progbits
	.p2align	6, 0x0
	.amdhsa_kernel _ZN9rocsparseL31bsrmm_large_blockdim_kernel_extILj4ELj16ELj2Ell21rocsparse_complex_numIdES2_S2_S2_EEvb20rocsparse_direction_T3_S4_llNS_24const_host_device_scalarIT7_EEPKT2_PKS4_PKT4_S4_PKT5_llS7_PT6_ll16rocsparse_order_21rocsparse_index_base_b
		.amdhsa_group_segment_fixed_size 2304
		.amdhsa_private_segment_fixed_size 0
		.amdhsa_kernarg_size 164
		.amdhsa_user_sgpr_count 2
		.amdhsa_user_sgpr_dispatch_ptr 0
		.amdhsa_user_sgpr_queue_ptr 0
		.amdhsa_user_sgpr_kernarg_segment_ptr 1
		.amdhsa_user_sgpr_dispatch_id 0
		.amdhsa_user_sgpr_kernarg_preload_length 0
		.amdhsa_user_sgpr_kernarg_preload_offset 0
		.amdhsa_user_sgpr_private_segment_size 0
		.amdhsa_uses_dynamic_stack 0
		.amdhsa_enable_private_segment 0
		.amdhsa_system_sgpr_workgroup_id_x 1
		.amdhsa_system_sgpr_workgroup_id_y 1
		.amdhsa_system_sgpr_workgroup_id_z 0
		.amdhsa_system_sgpr_workgroup_info 0
		.amdhsa_system_vgpr_workitem_id 1
		.amdhsa_next_free_vgpr 48
		.amdhsa_next_free_sgpr 47
		.amdhsa_accum_offset 48
		.amdhsa_reserve_vcc 1
		.amdhsa_float_round_mode_32 0
		.amdhsa_float_round_mode_16_64 0
		.amdhsa_float_denorm_mode_32 3
		.amdhsa_float_denorm_mode_16_64 3
		.amdhsa_dx10_clamp 1
		.amdhsa_ieee_mode 1
		.amdhsa_fp16_overflow 0
		.amdhsa_tg_split 0
		.amdhsa_exception_fp_ieee_invalid_op 0
		.amdhsa_exception_fp_denorm_src 0
		.amdhsa_exception_fp_ieee_div_zero 0
		.amdhsa_exception_fp_ieee_overflow 0
		.amdhsa_exception_fp_ieee_underflow 0
		.amdhsa_exception_fp_ieee_inexact 0
		.amdhsa_exception_int_div_zero 0
	.end_amdhsa_kernel
	.section	.text._ZN9rocsparseL31bsrmm_large_blockdim_kernel_extILj4ELj16ELj2Ell21rocsparse_complex_numIdES2_S2_S2_EEvb20rocsparse_direction_T3_S4_llNS_24const_host_device_scalarIT7_EEPKT2_PKS4_PKT4_S4_PKT5_llS7_PT6_ll16rocsparse_order_21rocsparse_index_base_b,"axG",@progbits,_ZN9rocsparseL31bsrmm_large_blockdim_kernel_extILj4ELj16ELj2Ell21rocsparse_complex_numIdES2_S2_S2_EEvb20rocsparse_direction_T3_S4_llNS_24const_host_device_scalarIT7_EEPKT2_PKS4_PKT4_S4_PKT5_llS7_PT6_ll16rocsparse_order_21rocsparse_index_base_b,comdat
.Lfunc_end45:
	.size	_ZN9rocsparseL31bsrmm_large_blockdim_kernel_extILj4ELj16ELj2Ell21rocsparse_complex_numIdES2_S2_S2_EEvb20rocsparse_direction_T3_S4_llNS_24const_host_device_scalarIT7_EEPKT2_PKS4_PKT4_S4_PKT5_llS7_PT6_ll16rocsparse_order_21rocsparse_index_base_b, .Lfunc_end45-_ZN9rocsparseL31bsrmm_large_blockdim_kernel_extILj4ELj16ELj2Ell21rocsparse_complex_numIdES2_S2_S2_EEvb20rocsparse_direction_T3_S4_llNS_24const_host_device_scalarIT7_EEPKT2_PKS4_PKT4_S4_PKT5_llS7_PT6_ll16rocsparse_order_21rocsparse_index_base_b
                                        ; -- End function
	.set _ZN9rocsparseL31bsrmm_large_blockdim_kernel_extILj4ELj16ELj2Ell21rocsparse_complex_numIdES2_S2_S2_EEvb20rocsparse_direction_T3_S4_llNS_24const_host_device_scalarIT7_EEPKT2_PKS4_PKT4_S4_PKT5_llS7_PT6_ll16rocsparse_order_21rocsparse_index_base_b.num_vgpr, 48
	.set _ZN9rocsparseL31bsrmm_large_blockdim_kernel_extILj4ELj16ELj2Ell21rocsparse_complex_numIdES2_S2_S2_EEvb20rocsparse_direction_T3_S4_llNS_24const_host_device_scalarIT7_EEPKT2_PKS4_PKT4_S4_PKT5_llS7_PT6_ll16rocsparse_order_21rocsparse_index_base_b.num_agpr, 0
	.set _ZN9rocsparseL31bsrmm_large_blockdim_kernel_extILj4ELj16ELj2Ell21rocsparse_complex_numIdES2_S2_S2_EEvb20rocsparse_direction_T3_S4_llNS_24const_host_device_scalarIT7_EEPKT2_PKS4_PKT4_S4_PKT5_llS7_PT6_ll16rocsparse_order_21rocsparse_index_base_b.numbered_sgpr, 47
	.set _ZN9rocsparseL31bsrmm_large_blockdim_kernel_extILj4ELj16ELj2Ell21rocsparse_complex_numIdES2_S2_S2_EEvb20rocsparse_direction_T3_S4_llNS_24const_host_device_scalarIT7_EEPKT2_PKS4_PKT4_S4_PKT5_llS7_PT6_ll16rocsparse_order_21rocsparse_index_base_b.num_named_barrier, 0
	.set _ZN9rocsparseL31bsrmm_large_blockdim_kernel_extILj4ELj16ELj2Ell21rocsparse_complex_numIdES2_S2_S2_EEvb20rocsparse_direction_T3_S4_llNS_24const_host_device_scalarIT7_EEPKT2_PKS4_PKT4_S4_PKT5_llS7_PT6_ll16rocsparse_order_21rocsparse_index_base_b.private_seg_size, 0
	.set _ZN9rocsparseL31bsrmm_large_blockdim_kernel_extILj4ELj16ELj2Ell21rocsparse_complex_numIdES2_S2_S2_EEvb20rocsparse_direction_T3_S4_llNS_24const_host_device_scalarIT7_EEPKT2_PKS4_PKT4_S4_PKT5_llS7_PT6_ll16rocsparse_order_21rocsparse_index_base_b.uses_vcc, 1
	.set _ZN9rocsparseL31bsrmm_large_blockdim_kernel_extILj4ELj16ELj2Ell21rocsparse_complex_numIdES2_S2_S2_EEvb20rocsparse_direction_T3_S4_llNS_24const_host_device_scalarIT7_EEPKT2_PKS4_PKT4_S4_PKT5_llS7_PT6_ll16rocsparse_order_21rocsparse_index_base_b.uses_flat_scratch, 0
	.set _ZN9rocsparseL31bsrmm_large_blockdim_kernel_extILj4ELj16ELj2Ell21rocsparse_complex_numIdES2_S2_S2_EEvb20rocsparse_direction_T3_S4_llNS_24const_host_device_scalarIT7_EEPKT2_PKS4_PKT4_S4_PKT5_llS7_PT6_ll16rocsparse_order_21rocsparse_index_base_b.has_dyn_sized_stack, 0
	.set _ZN9rocsparseL31bsrmm_large_blockdim_kernel_extILj4ELj16ELj2Ell21rocsparse_complex_numIdES2_S2_S2_EEvb20rocsparse_direction_T3_S4_llNS_24const_host_device_scalarIT7_EEPKT2_PKS4_PKT4_S4_PKT5_llS7_PT6_ll16rocsparse_order_21rocsparse_index_base_b.has_recursion, 0
	.set _ZN9rocsparseL31bsrmm_large_blockdim_kernel_extILj4ELj16ELj2Ell21rocsparse_complex_numIdES2_S2_S2_EEvb20rocsparse_direction_T3_S4_llNS_24const_host_device_scalarIT7_EEPKT2_PKS4_PKT4_S4_PKT5_llS7_PT6_ll16rocsparse_order_21rocsparse_index_base_b.has_indirect_call, 0
	.section	.AMDGPU.csdata,"",@progbits
; Kernel info:
; codeLenInByte = 2056
; TotalNumSgprs: 53
; NumVgprs: 48
; NumAgprs: 0
; TotalNumVgprs: 48
; ScratchSize: 0
; MemoryBound: 0
; FloatMode: 240
; IeeeMode: 1
; LDSByteSize: 2304 bytes/workgroup (compile time only)
; SGPRBlocks: 6
; VGPRBlocks: 5
; NumSGPRsForWavesPerEU: 53
; NumVGPRsForWavesPerEU: 48
; AccumOffset: 48
; Occupancy: 8
; WaveLimiterHint : 1
; COMPUTE_PGM_RSRC2:SCRATCH_EN: 0
; COMPUTE_PGM_RSRC2:USER_SGPR: 2
; COMPUTE_PGM_RSRC2:TRAP_HANDLER: 0
; COMPUTE_PGM_RSRC2:TGID_X_EN: 1
; COMPUTE_PGM_RSRC2:TGID_Y_EN: 1
; COMPUTE_PGM_RSRC2:TGID_Z_EN: 0
; COMPUTE_PGM_RSRC2:TIDIG_COMP_CNT: 1
; COMPUTE_PGM_RSRC3_GFX90A:ACCUM_OFFSET: 11
; COMPUTE_PGM_RSRC3_GFX90A:TG_SPLIT: 0
	.section	.text._ZN9rocsparseL31bsrmm_large_blockdim_kernel_extILj16ELj16ELj2Ell21rocsparse_complex_numIdES2_S2_S2_EEvb20rocsparse_direction_T3_S4_llNS_24const_host_device_scalarIT7_EEPKT2_PKS4_PKT4_S4_PKT5_llS7_PT6_ll16rocsparse_order_21rocsparse_index_base_b,"axG",@progbits,_ZN9rocsparseL31bsrmm_large_blockdim_kernel_extILj16ELj16ELj2Ell21rocsparse_complex_numIdES2_S2_S2_EEvb20rocsparse_direction_T3_S4_llNS_24const_host_device_scalarIT7_EEPKT2_PKS4_PKT4_S4_PKT5_llS7_PT6_ll16rocsparse_order_21rocsparse_index_base_b,comdat
	.globl	_ZN9rocsparseL31bsrmm_large_blockdim_kernel_extILj16ELj16ELj2Ell21rocsparse_complex_numIdES2_S2_S2_EEvb20rocsparse_direction_T3_S4_llNS_24const_host_device_scalarIT7_EEPKT2_PKS4_PKT4_S4_PKT5_llS7_PT6_ll16rocsparse_order_21rocsparse_index_base_b ; -- Begin function _ZN9rocsparseL31bsrmm_large_blockdim_kernel_extILj16ELj16ELj2Ell21rocsparse_complex_numIdES2_S2_S2_EEvb20rocsparse_direction_T3_S4_llNS_24const_host_device_scalarIT7_EEPKT2_PKS4_PKT4_S4_PKT5_llS7_PT6_ll16rocsparse_order_21rocsparse_index_base_b
	.p2align	8
	.type	_ZN9rocsparseL31bsrmm_large_blockdim_kernel_extILj16ELj16ELj2Ell21rocsparse_complex_numIdES2_S2_S2_EEvb20rocsparse_direction_T3_S4_llNS_24const_host_device_scalarIT7_EEPKT2_PKS4_PKT4_S4_PKT5_llS7_PT6_ll16rocsparse_order_21rocsparse_index_base_b,@function
_ZN9rocsparseL31bsrmm_large_blockdim_kernel_extILj16ELj16ELj2Ell21rocsparse_complex_numIdES2_S2_S2_EEvb20rocsparse_direction_T3_S4_llNS_24const_host_device_scalarIT7_EEPKT2_PKS4_PKT4_S4_PKT5_llS7_PT6_ll16rocsparse_order_21rocsparse_index_base_b: ; @_ZN9rocsparseL31bsrmm_large_blockdim_kernel_extILj16ELj16ELj2Ell21rocsparse_complex_numIdES2_S2_S2_EEvb20rocsparse_direction_T3_S4_llNS_24const_host_device_scalarIT7_EEPKT2_PKS4_PKT4_S4_PKT5_llS7_PT6_ll16rocsparse_order_21rocsparse_index_base_b
; %bb.0:
	s_load_dwordx2 s[4:5], s[0:1], 0x28
	s_load_dwordx4 s[16:19], s[0:1], 0x98
	s_mov_b32 s6, s3
	s_add_u32 s3, s0, 40
	s_addc_u32 s7, s1, 0
	s_add_u32 s10, s0, 0x70
	s_load_dwordx2 s[8:9], s[0:1], 0x70
	s_addc_u32 s11, s1, 0
	s_waitcnt lgkmcnt(0)
	s_bitcmp1_b32 s18, 0
	s_cselect_b32 s5, s7, s5
	s_cselect_b32 s3, s3, s4
	v_mov_b32_e32 v2, s3
	v_mov_b32_e32 v3, s5
	flat_load_dwordx4 v[2:5], v[2:3]
	s_cselect_b32 s3, s11, s9
	s_cselect_b32 s4, s10, s8
	v_mov_b32_e32 v6, s4
	v_mov_b32_e32 v7, s3
	flat_load_dwordx4 v[6:9], v[6:7]
	s_waitcnt vmcnt(0) lgkmcnt(0)
	v_cmp_eq_f64_e32 vcc, 0, v[2:3]
	v_cmp_eq_f64_e64 s[4:5], 0, v[4:5]
	s_and_b64 s[10:11], vcc, s[4:5]
	s_mov_b64 s[4:5], -1
	s_and_saveexec_b64 s[8:9], s[10:11]
; %bb.1:
	v_cmp_neq_f64_e32 vcc, 1.0, v[6:7]
	v_cmp_neq_f64_e64 s[4:5], 0, v[8:9]
	s_or_b64 s[4:5], vcc, s[4:5]
	s_orn2_b64 s[4:5], s[4:5], exec
; %bb.2:
	s_or_b64 exec, exec, s[8:9]
	s_and_saveexec_b64 s[8:9], s[4:5]
	s_cbranch_execz .LBB46_48
; %bb.3:
	s_load_dwordx4 s[12:15], s[0:1], 0x8
	s_load_dwordx2 s[8:9], s[0:1], 0x38
	s_ashr_i32 s3, s2, 31
	v_mov_b64_e32 v[10:11], s[2:3]
	s_mov_b64 s[38:39], 0
	s_waitcnt lgkmcnt(0)
	v_cmp_le_i64_e32 vcc, s[12:13], v[10:11]
	v_cmp_gt_i64_e64 s[4:5], s[12:13], v[10:11]
	s_mov_b64 s[28:29], 0
	s_cbranch_vccnz .LBB46_5
; %bb.4:
	s_lshl_b64 s[10:11], s[2:3], 3
	s_add_u32 s10, s8, s10
	s_addc_u32 s11, s9, s11
	s_load_dwordx2 s[10:11], s[10:11], 0x0
	s_waitcnt lgkmcnt(0)
	s_sub_u32 s28, s10, s17
	s_subb_u32 s29, s11, 0
.LBB46_5:
	s_andn2_b64 vcc, exec, s[4:5]
	s_cbranch_vccnz .LBB46_7
; %bb.6:
	s_lshl_b64 s[10:11], s[2:3], 3
	s_add_u32 s8, s8, s10
	s_addc_u32 s9, s9, s11
	s_load_dwordx2 s[8:9], s[8:9], 0x8
	s_waitcnt lgkmcnt(0)
	s_sub_u32 s38, s8, s17
	s_subb_u32 s39, s9, 0
.LBB46_7:
	s_load_dwordx2 s[18:19], s[0:1], 0x80
	s_load_dwordx2 s[30:31], s[0:1], 0x50
	v_bfe_u32 v24, v0, 10, 10
	v_lshl_add_u32 v20, s6, 5, v24
	v_mov_b32_e32 v21, 0
	v_and_b32_e32 v10, 0x3ff, v0
	v_mov_b64_e32 v[0:1], s[38:39]
	v_add_u32_e32 v14, 16, v20
	v_mov_b32_e32 v15, v21
	v_mov_b32_e32 v11, v21
	v_cmp_ge_i64_e32 vcc, s[28:29], v[0:1]
	s_waitcnt lgkmcnt(0)
	v_cmp_gt_i64_e64 s[6:7], s[30:31], v[10:11]
	v_mov_b64_e32 v[0:1], 0
	s_and_b64 vcc, exec, vcc
	v_cmp_gt_i64_e64 s[8:9], s[14:15], v[20:21]
	v_cmp_gt_i64_e64 s[10:11], s[14:15], v[14:15]
	v_mov_b64_e32 v[12:13], 0
	v_mov_b64_e32 v[18:19], 0
	;; [unrolled: 1-line block ×3, first 2 shown]
	s_cbranch_vccnz .LBB46_25
; %bb.8:
	s_load_dwordx4 s[24:27], s[0:1], 0x40
	s_load_dwordx2 s[36:37], s[0:1], 0x0
	s_mul_i32 s3, s30, s31
	s_mul_hi_u32 s12, s30, s30
	v_mov_b32_e32 v25, v21
	s_add_i32 s12, s12, s3
	v_cmp_gt_i64_e32 vcc, s[30:31], v[24:25]
	s_add_i32 s3, s12, s3
	s_and_b64 s[34:35], s[6:7], vcc
	s_waitcnt lgkmcnt(0)
	s_bitcmp1_b32 s36, 0
	s_load_dwordx4 s[20:23], s[0:1], 0x58
	s_cselect_b64 s[12:13], -1, 0
	s_cmp_eq_u32 s37, 0
	v_mad_u64_u32 v[16:17], s[36:37], s30, v24, 0
	v_mov_b32_e32 v18, v17
	v_mad_u64_u32 v[18:19], s[36:37], s31, v24, v[18:19]
	v_mov_b32_e32 v17, v18
	v_lshlrev_b32_e32 v12, 4, v10
	v_mov_b32_e32 v13, v21
	v_lshlrev_b32_e32 v36, 8, v24
	v_lshl_add_u64 v[16:17], v[16:17], 4, s[26:27]
	s_waitcnt lgkmcnt(0)
	v_lshl_add_u64 v[22:23], s[20:21], 0, v[12:13]
	v_add_u32_e32 v37, v36, v12
	v_lshl_add_u64 v[12:13], v[16:17], 0, v[12:13]
	v_mad_u64_u32 v[16:17], s[36:37], s30, v10, 0
	v_mov_b32_e32 v18, v17
	v_mad_u64_u32 v[18:19], s[36:37], s31, v10, v[18:19]
	v_mov_b32_e32 v17, v18
	v_lshlrev_b32_e32 v0, 4, v24
	v_lshl_add_u64 v[16:17], v[16:17], 4, s[26:27]
	v_mov_b32_e32 v1, v21
	v_lshl_add_u64 v[16:17], v[16:17], 0, v[0:1]
	v_mov_b32_e32 v1, 0x2000
	v_lshl_add_u32 v38, v10, 8, v1
	v_mad_u64_u32 v[24:25], s[26:27], s22, v20, 0
	v_add_u32_e32 v39, v38, v0
	v_mov_b32_e32 v0, v25
	v_mad_u64_u32 v[0:1], s[26:27], s23, v20, v[0:1]
	v_mad_u64_u32 v[26:27], s[26:27], s22, v14, 0
	v_mov_b32_e32 v25, v0
	v_mov_b32_e32 v0, v27
	s_cselect_b64 vcc, -1, 0
	v_cmp_gt_i64_e64 s[36:37], s[30:31], 0
	v_mad_u64_u32 v[0:1], s[26:27], s23, v14, v[0:1]
	s_mul_i32 s33, s30, s30
	v_add_u32_e32 v40, 0x1000, v37
	v_mov_b32_e32 v27, v0
	s_and_b64 s[26:27], s[8:9], s[36:37]
	s_and_b64 s[36:37], s[10:11], s[36:37]
	v_cndmask_b32_e32 v29, v13, v17, vcc
	v_cndmask_b32_e32 v28, v12, v16, vcc
	v_add_u32_e32 v41, 0x1000, v36
	v_mov_b64_e32 v[16:17], 0
	v_mov_b64_e32 v[30:31], s[38:39]
	;; [unrolled: 1-line block ×5, first 2 shown]
	s_branch .LBB46_11
.LBB46_9:                               ;   in Loop: Header=BB46_11 Depth=1
	s_or_b64 exec, exec, s[40:41]
.LBB46_10:                              ;   in Loop: Header=BB46_11 Depth=1
	s_or_b64 exec, exec, s[38:39]
	s_add_u32 s28, s28, 1
	s_addc_u32 s29, s29, 0
	v_cmp_ge_i64_e32 vcc, s[28:29], v[30:31]
	s_barrier
	s_cbranch_vccnz .LBB46_25
.LBB46_11:                              ; =>This Loop Header: Depth=1
                                        ;     Child Loop BB46_21 Depth 2
                                        ;     Child Loop BB46_24 Depth 2
	s_and_saveexec_b64 s[38:39], s[6:7]
	s_cbranch_execz .LBB46_16
; %bb.12:                               ;   in Loop: Header=BB46_11 Depth=1
	s_lshl_b64 s[40:41], s[28:29], 3
	s_add_u32 s40, s24, s40
	s_addc_u32 s41, s25, s41
	s_load_dwordx2 s[40:41], s[40:41], 0x0
	v_mov_b32_e32 v32, s30
	s_waitcnt lgkmcnt(0)
	s_sub_u32 s42, s40, s17
	s_subb_u32 s41, s41, 0
	s_mul_i32 s44, s42, s31
	s_mul_i32 s41, s41, s30
	s_mul_hi_u32 s43, s42, s30
	s_add_i32 s44, s44, s41
	s_mul_i32 s40, s42, s30
	s_add_i32 s41, s44, s43
	v_mad_u64_u32 v[32:33], s[42:43], s42, v32, v[10:11]
	v_add_u32_e32 v33, s44, v33
	v_mul_lo_u32 v34, v33, s22
	v_mul_lo_u32 v35, v32, s23
	v_mad_u64_u32 v[32:33], s[42:43], v32, s22, 0
	v_add3_u32 v33, v33, v35, v34
	v_lshl_add_u64 v[32:33], v[32:33], 4, s[20:21]
	v_lshl_add_u64 v[34:35], s[40:41], 4, v[22:23]
	s_and_saveexec_b64 s[40:41], s[8:9]
	s_cbranch_execz .LBB46_14
; %bb.13:                               ;   in Loop: Header=BB46_11 Depth=1
	v_lshl_add_u64 v[42:43], v[24:25], 4, v[34:35]
	v_lshl_add_u64 v[44:45], v[20:21], 4, v[32:33]
	v_cndmask_b32_e64 v43, v45, v43, s[12:13]
	v_cndmask_b32_e64 v42, v44, v42, s[12:13]
	global_load_dwordx4 v[42:45], v[42:43], off
	s_waitcnt vmcnt(0)
	ds_write2_b64 v37, v[42:43], v[44:45] offset1:1
.LBB46_14:                              ;   in Loop: Header=BB46_11 Depth=1
	s_or_b64 exec, exec, s[40:41]
	s_and_b64 exec, exec, s[10:11]
	s_cbranch_execz .LBB46_16
; %bb.15:                               ;   in Loop: Header=BB46_11 Depth=1
	v_lshl_add_u64 v[34:35], v[26:27], 4, v[34:35]
	v_lshl_add_u64 v[32:33], v[14:15], 4, v[32:33]
	v_cndmask_b32_e64 v33, v33, v35, s[12:13]
	v_cndmask_b32_e64 v32, v32, v34, s[12:13]
	global_load_dwordx4 v[32:35], v[32:33], off
	s_waitcnt vmcnt(0)
	ds_write2_b64 v40, v[32:33], v[34:35] offset1:1
.LBB46_16:                              ;   in Loop: Header=BB46_11 Depth=1
	s_or_b64 exec, exec, s[38:39]
	s_and_saveexec_b64 s[38:39], s[34:35]
	s_cbranch_execz .LBB46_18
; %bb.17:                               ;   in Loop: Header=BB46_11 Depth=1
	s_mul_i32 s40, s33, s29
	s_mul_hi_u32 s41, s33, s28
	s_add_i32 s40, s41, s40
	s_mul_i32 s41, s3, s28
	s_add_i32 s41, s40, s41
	s_mul_i32 s40, s33, s28
	v_lshl_add_u64 v[32:33], s[40:41], 4, v[28:29]
	global_load_dwordx4 v[32:35], v[32:33], off
	s_waitcnt vmcnt(0)
	ds_write2_b64 v39, v[32:33], v[34:35] offset1:1
.LBB46_18:                              ;   in Loop: Header=BB46_11 Depth=1
	s_or_b64 exec, exec, s[38:39]
	s_waitcnt lgkmcnt(0)
	s_barrier
	s_and_saveexec_b64 s[38:39], s[6:7]
	s_cbranch_execz .LBB46_10
; %bb.19:                               ;   in Loop: Header=BB46_11 Depth=1
	s_and_saveexec_b64 s[40:41], s[26:27]
	s_cbranch_execz .LBB46_22
; %bb.20:                               ;   in Loop: Header=BB46_11 Depth=1
	v_mov_b32_e32 v32, v38
	v_mov_b32_e32 v33, v36
	s_mov_b64 s[42:43], s[30:31]
.LBB46_21:                              ;   Parent Loop BB46_11 Depth=1
                                        ; =>  This Inner Loop Header: Depth=2
	ds_read_b128 v[42:45], v32
	ds_read_b128 v[46:49], v33
	s_add_u32 s42, s42, -1
	s_addc_u32 s43, s43, -1
	v_add_u32_e32 v33, 16, v33
	v_add_u32_e32 v32, 16, v32
	s_waitcnt lgkmcnt(0)
	v_fmac_f64_e32 v[0:1], v[42:43], v[46:47]
	v_fmac_f64_e32 v[12:13], v[44:45], v[46:47]
	s_cmp_lg_u64 s[42:43], 0
	v_fma_f64 v[0:1], -v[44:45], v[48:49], v[0:1]
	v_fmac_f64_e32 v[12:13], v[42:43], v[48:49]
	s_cbranch_scc1 .LBB46_21
.LBB46_22:                              ;   in Loop: Header=BB46_11 Depth=1
	s_or_b64 exec, exec, s[40:41]
	s_and_saveexec_b64 s[40:41], s[36:37]
	s_cbranch_execz .LBB46_9
; %bb.23:                               ;   in Loop: Header=BB46_11 Depth=1
	v_mov_b32_e32 v32, v38
	v_mov_b32_e32 v33, v41
	s_mov_b64 s[42:43], s[30:31]
.LBB46_24:                              ;   Parent Loop BB46_11 Depth=1
                                        ; =>  This Inner Loop Header: Depth=2
	ds_read_b128 v[42:45], v32
	ds_read_b128 v[46:49], v33
	s_add_u32 s42, s42, -1
	s_addc_u32 s43, s43, -1
	v_add_u32_e32 v33, 16, v33
	v_add_u32_e32 v32, 16, v32
	s_waitcnt lgkmcnt(0)
	v_fmac_f64_e32 v[18:19], v[42:43], v[46:47]
	v_fmac_f64_e32 v[16:17], v[44:45], v[46:47]
	s_cmp_lg_u64 s[42:43], 0
	v_fma_f64 v[18:19], -v[44:45], v[48:49], v[18:19]
	v_fmac_f64_e32 v[16:17], v[42:43], v[48:49]
	s_cbranch_scc1 .LBB46_24
	s_branch .LBB46_9
.LBB46_25:
	s_and_b64 s[4:5], s[4:5], s[6:7]
	s_and_b64 exec, exec, s[4:5]
	s_cbranch_execz .LBB46_48
; %bb.26:
	v_mov_b32_e32 v22, s2
	v_mad_u64_u32 v[10:11], s[4:5], s30, v22, v[10:11]
	s_mul_i32 s2, s31, s2
	v_add_u32_e32 v11, s2, v11
	s_load_dwordx2 s[2:3], s[0:1], 0x88
	v_cmp_neq_f64_e32 vcc, 0, v[6:7]
	v_cmp_neq_f64_e64 s[0:1], 0, v[8:9]
	s_or_b64 s[4:5], vcc, s[0:1]
	s_cmp_lg_u32 s16, 1
	s_waitcnt lgkmcnt(0)
	v_mul_lo_u32 v24, s3, v10
	v_mul_lo_u32 v25, s2, v11
	v_mad_u64_u32 v[22:23], s[6:7], s2, v10, 0
	v_add3_u32 v23, v23, v25, v24
	s_cselect_b64 s[0:1], -1, 0
	v_lshl_add_u64 v[24:25], v[22:23], 4, s[18:19]
	v_lshl_add_u64 v[22:23], v[10:11], 4, s[18:19]
	v_cmp_gt_i64_e32 vcc, s[14:15], v[20:21]
	s_and_saveexec_b64 s[6:7], vcc
	s_cbranch_execz .LBB46_37
; %bb.27:
	s_and_saveexec_b64 s[8:9], s[4:5]
	s_xor_b64 s[8:9], exec, s[8:9]
	s_cbranch_execz .LBB46_32
; %bb.28:
	s_mov_b64 s[10:11], -1
	s_and_b64 vcc, exec, s[0:1]
	s_cbranch_vccz .LBB46_30
; %bb.29:
	v_lshl_add_u64 v[10:11], v[20:21], 4, v[24:25]
	global_load_dwordx4 v[26:29], v[10:11], off
	v_mul_f64 v[30:31], v[12:13], -v[4:5]
	v_mul_f64 v[32:33], v[2:3], v[12:13]
	v_fmac_f64_e32 v[30:31], v[2:3], v[0:1]
	v_fmac_f64_e32 v[32:33], v[4:5], v[0:1]
	s_mov_b64 s[10:11], 0
	s_waitcnt vmcnt(0)
	v_fmac_f64_e32 v[30:31], v[6:7], v[26:27]
	v_fmac_f64_e32 v[32:33], v[8:9], v[26:27]
	v_fma_f64 v[30:31], -v[8:9], v[28:29], v[30:31]
	v_fmac_f64_e32 v[32:33], v[6:7], v[28:29]
	global_store_dwordx4 v[10:11], v[30:33], off
.LBB46_30:
	s_andn2_b64 vcc, exec, s[10:11]
	s_cbranch_vccnz .LBB46_32
; %bb.31:
	v_mad_u64_u32 v[10:11], s[10:11], s2, v20, 0
	v_mov_b32_e32 v26, v11
	v_mad_u64_u32 v[20:21], s[10:11], s3, v20, v[26:27]
	v_mov_b32_e32 v11, v20
	v_lshl_add_u64 v[20:21], v[10:11], 4, v[22:23]
	global_load_dwordx4 v[26:29], v[20:21], off
	v_mul_f64 v[10:11], v[12:13], -v[4:5]
	v_mul_f64 v[12:13], v[2:3], v[12:13]
	v_fmac_f64_e32 v[10:11], v[2:3], v[0:1]
	v_fmac_f64_e32 v[12:13], v[4:5], v[0:1]
                                        ; implicit-def: $vgpr0_vgpr1
	s_waitcnt vmcnt(0)
	v_fmac_f64_e32 v[10:11], v[6:7], v[26:27]
	v_fmac_f64_e32 v[12:13], v[8:9], v[26:27]
	v_fma_f64 v[10:11], -v[8:9], v[28:29], v[10:11]
	v_fmac_f64_e32 v[12:13], v[6:7], v[28:29]
	global_store_dwordx4 v[20:21], v[10:13], off
                                        ; implicit-def: $vgpr20_vgpr21
                                        ; implicit-def: $vgpr12_vgpr13
.LBB46_32:
	s_andn2_saveexec_b64 s[8:9], s[8:9]
	s_cbranch_execz .LBB46_37
; %bb.33:
	v_mul_f64 v[10:11], v[12:13], -v[4:5]
	v_mul_f64 v[12:13], v[2:3], v[12:13]
	v_fmac_f64_e32 v[10:11], v[2:3], v[0:1]
	v_fmac_f64_e32 v[12:13], v[4:5], v[0:1]
	s_mov_b64 s[8:9], -1
	s_and_b64 vcc, exec, s[0:1]
	s_cbranch_vccz .LBB46_35
; %bb.34:
	v_lshl_add_u64 v[0:1], v[20:21], 4, v[24:25]
	global_store_dwordx4 v[0:1], v[10:13], off
	s_mov_b64 s[8:9], 0
.LBB46_35:
	s_andn2_b64 vcc, exec, s[8:9]
	s_cbranch_vccnz .LBB46_37
; %bb.36:
	v_mad_u64_u32 v[0:1], s[8:9], s2, v20, 0
	v_mov_b32_e32 v26, v1
	v_mad_u64_u32 v[20:21], s[8:9], s3, v20, v[26:27]
	v_mov_b32_e32 v1, v20
	v_lshl_add_u64 v[0:1], v[0:1], 4, v[22:23]
	global_store_dwordx4 v[0:1], v[10:13], off
.LBB46_37:
	s_or_b64 exec, exec, s[6:7]
	v_cmp_gt_i64_e32 vcc, s[14:15], v[14:15]
	s_and_b64 exec, exec, vcc
	s_cbranch_execz .LBB46_48
; %bb.38:
	v_cndmask_b32_e64 v0, 0, 1, s[0:1]
	v_cmp_ne_u32_e64 s[0:1], 1, v0
	s_and_saveexec_b64 s[6:7], s[4:5]
	s_xor_b64 s[4:5], exec, s[6:7]
	s_cbranch_execz .LBB46_43
; %bb.39:
	s_and_b64 vcc, exec, s[0:1]
	s_mov_b64 s[6:7], -1
	s_cbranch_vccnz .LBB46_41
; %bb.40:
	v_lshl_add_u64 v[0:1], v[14:15], 4, v[24:25]
	global_load_dwordx4 v[10:13], v[0:1], off
	v_mul_f64 v[20:21], v[16:17], -v[4:5]
	v_mul_f64 v[26:27], v[2:3], v[16:17]
	v_fmac_f64_e32 v[20:21], v[2:3], v[18:19]
	v_fmac_f64_e32 v[26:27], v[4:5], v[18:19]
	s_mov_b64 s[6:7], 0
	s_waitcnt vmcnt(0)
	v_fmac_f64_e32 v[20:21], v[6:7], v[10:11]
	v_fmac_f64_e32 v[26:27], v[8:9], v[10:11]
	v_fma_f64 v[24:25], -v[8:9], v[12:13], v[20:21]
	v_fmac_f64_e32 v[26:27], v[6:7], v[12:13]
	global_store_dwordx4 v[0:1], v[24:27], off
.LBB46_41:
	s_andn2_b64 vcc, exec, s[6:7]
                                        ; implicit-def: $vgpr24_vgpr25
	s_cbranch_vccnz .LBB46_43
; %bb.42:
	v_mad_u64_u32 v[0:1], s[6:7], s2, v14, 0
	v_mov_b32_e32 v10, v1
	v_mad_u64_u32 v[10:11], s[6:7], s3, v14, v[10:11]
	v_mov_b32_e32 v1, v10
	v_lshl_add_u64 v[0:1], v[0:1], 4, v[22:23]
	global_load_dwordx4 v[10:13], v[0:1], off
	v_mul_f64 v[14:15], v[16:17], -v[4:5]
	v_mul_f64 v[16:17], v[2:3], v[16:17]
	v_fmac_f64_e32 v[14:15], v[2:3], v[18:19]
	v_fmac_f64_e32 v[16:17], v[4:5], v[18:19]
                                        ; implicit-def: $vgpr22_vgpr23
                                        ; implicit-def: $vgpr4_vgpr5
                                        ; implicit-def: $vgpr18_vgpr19
                                        ; implicit-def: $vgpr24_vgpr25
	s_waitcnt vmcnt(0)
	v_fmac_f64_e32 v[14:15], v[6:7], v[10:11]
	v_fmac_f64_e32 v[16:17], v[8:9], v[10:11]
	v_fma_f64 v[14:15], -v[8:9], v[12:13], v[14:15]
	v_fmac_f64_e32 v[16:17], v[6:7], v[12:13]
	global_store_dwordx4 v[0:1], v[14:17], off
                                        ; implicit-def: $vgpr14_vgpr15
                                        ; implicit-def: $vgpr16_vgpr17
.LBB46_43:
	s_andn2_saveexec_b64 s[4:5], s[4:5]
	s_cbranch_execz .LBB46_48
; %bb.44:
	v_mul_f64 v[0:1], v[16:17], -v[4:5]
	v_fmac_f64_e32 v[0:1], v[2:3], v[18:19]
	v_mul_f64 v[2:3], v[2:3], v[16:17]
	v_fmac_f64_e32 v[2:3], v[4:5], v[18:19]
	s_and_b64 vcc, exec, s[0:1]
	s_mov_b64 s[0:1], -1
	s_cbranch_vccnz .LBB46_46
; %bb.45:
	v_lshl_add_u64 v[4:5], v[14:15], 4, v[24:25]
	s_mov_b64 s[0:1], 0
	global_store_dwordx4 v[4:5], v[0:3], off
.LBB46_46:
	s_andn2_b64 vcc, exec, s[0:1]
	s_cbranch_vccnz .LBB46_48
; %bb.47:
	v_mad_u64_u32 v[4:5], s[0:1], s2, v14, 0
	v_mov_b32_e32 v6, v5
	v_mad_u64_u32 v[6:7], s[0:1], s3, v14, v[6:7]
	v_mov_b32_e32 v5, v6
	v_lshl_add_u64 v[4:5], v[4:5], 4, v[22:23]
	global_store_dwordx4 v[4:5], v[0:3], off
.LBB46_48:
	s_endpgm
	.section	.rodata,"a",@progbits
	.p2align	6, 0x0
	.amdhsa_kernel _ZN9rocsparseL31bsrmm_large_blockdim_kernel_extILj16ELj16ELj2Ell21rocsparse_complex_numIdES2_S2_S2_EEvb20rocsparse_direction_T3_S4_llNS_24const_host_device_scalarIT7_EEPKT2_PKS4_PKT4_S4_PKT5_llS7_PT6_ll16rocsparse_order_21rocsparse_index_base_b
		.amdhsa_group_segment_fixed_size 12288
		.amdhsa_private_segment_fixed_size 0
		.amdhsa_kernarg_size 164
		.amdhsa_user_sgpr_count 2
		.amdhsa_user_sgpr_dispatch_ptr 0
		.amdhsa_user_sgpr_queue_ptr 0
		.amdhsa_user_sgpr_kernarg_segment_ptr 1
		.amdhsa_user_sgpr_dispatch_id 0
		.amdhsa_user_sgpr_kernarg_preload_length 0
		.amdhsa_user_sgpr_kernarg_preload_offset 0
		.amdhsa_user_sgpr_private_segment_size 0
		.amdhsa_uses_dynamic_stack 0
		.amdhsa_enable_private_segment 0
		.amdhsa_system_sgpr_workgroup_id_x 1
		.amdhsa_system_sgpr_workgroup_id_y 1
		.amdhsa_system_sgpr_workgroup_id_z 0
		.amdhsa_system_sgpr_workgroup_info 0
		.amdhsa_system_vgpr_workitem_id 1
		.amdhsa_next_free_vgpr 50
		.amdhsa_next_free_sgpr 45
		.amdhsa_accum_offset 52
		.amdhsa_reserve_vcc 1
		.amdhsa_float_round_mode_32 0
		.amdhsa_float_round_mode_16_64 0
		.amdhsa_float_denorm_mode_32 3
		.amdhsa_float_denorm_mode_16_64 3
		.amdhsa_dx10_clamp 1
		.amdhsa_ieee_mode 1
		.amdhsa_fp16_overflow 0
		.amdhsa_tg_split 0
		.amdhsa_exception_fp_ieee_invalid_op 0
		.amdhsa_exception_fp_denorm_src 0
		.amdhsa_exception_fp_ieee_div_zero 0
		.amdhsa_exception_fp_ieee_overflow 0
		.amdhsa_exception_fp_ieee_underflow 0
		.amdhsa_exception_fp_ieee_inexact 0
		.amdhsa_exception_int_div_zero 0
	.end_amdhsa_kernel
	.section	.text._ZN9rocsparseL31bsrmm_large_blockdim_kernel_extILj16ELj16ELj2Ell21rocsparse_complex_numIdES2_S2_S2_EEvb20rocsparse_direction_T3_S4_llNS_24const_host_device_scalarIT7_EEPKT2_PKS4_PKT4_S4_PKT5_llS7_PT6_ll16rocsparse_order_21rocsparse_index_base_b,"axG",@progbits,_ZN9rocsparseL31bsrmm_large_blockdim_kernel_extILj16ELj16ELj2Ell21rocsparse_complex_numIdES2_S2_S2_EEvb20rocsparse_direction_T3_S4_llNS_24const_host_device_scalarIT7_EEPKT2_PKS4_PKT4_S4_PKT5_llS7_PT6_ll16rocsparse_order_21rocsparse_index_base_b,comdat
.Lfunc_end46:
	.size	_ZN9rocsparseL31bsrmm_large_blockdim_kernel_extILj16ELj16ELj2Ell21rocsparse_complex_numIdES2_S2_S2_EEvb20rocsparse_direction_T3_S4_llNS_24const_host_device_scalarIT7_EEPKT2_PKS4_PKT4_S4_PKT5_llS7_PT6_ll16rocsparse_order_21rocsparse_index_base_b, .Lfunc_end46-_ZN9rocsparseL31bsrmm_large_blockdim_kernel_extILj16ELj16ELj2Ell21rocsparse_complex_numIdES2_S2_S2_EEvb20rocsparse_direction_T3_S4_llNS_24const_host_device_scalarIT7_EEPKT2_PKS4_PKT4_S4_PKT5_llS7_PT6_ll16rocsparse_order_21rocsparse_index_base_b
                                        ; -- End function
	.set _ZN9rocsparseL31bsrmm_large_blockdim_kernel_extILj16ELj16ELj2Ell21rocsparse_complex_numIdES2_S2_S2_EEvb20rocsparse_direction_T3_S4_llNS_24const_host_device_scalarIT7_EEPKT2_PKS4_PKT4_S4_PKT5_llS7_PT6_ll16rocsparse_order_21rocsparse_index_base_b.num_vgpr, 50
	.set _ZN9rocsparseL31bsrmm_large_blockdim_kernel_extILj16ELj16ELj2Ell21rocsparse_complex_numIdES2_S2_S2_EEvb20rocsparse_direction_T3_S4_llNS_24const_host_device_scalarIT7_EEPKT2_PKS4_PKT4_S4_PKT5_llS7_PT6_ll16rocsparse_order_21rocsparse_index_base_b.num_agpr, 0
	.set _ZN9rocsparseL31bsrmm_large_blockdim_kernel_extILj16ELj16ELj2Ell21rocsparse_complex_numIdES2_S2_S2_EEvb20rocsparse_direction_T3_S4_llNS_24const_host_device_scalarIT7_EEPKT2_PKS4_PKT4_S4_PKT5_llS7_PT6_ll16rocsparse_order_21rocsparse_index_base_b.numbered_sgpr, 45
	.set _ZN9rocsparseL31bsrmm_large_blockdim_kernel_extILj16ELj16ELj2Ell21rocsparse_complex_numIdES2_S2_S2_EEvb20rocsparse_direction_T3_S4_llNS_24const_host_device_scalarIT7_EEPKT2_PKS4_PKT4_S4_PKT5_llS7_PT6_ll16rocsparse_order_21rocsparse_index_base_b.num_named_barrier, 0
	.set _ZN9rocsparseL31bsrmm_large_blockdim_kernel_extILj16ELj16ELj2Ell21rocsparse_complex_numIdES2_S2_S2_EEvb20rocsparse_direction_T3_S4_llNS_24const_host_device_scalarIT7_EEPKT2_PKS4_PKT4_S4_PKT5_llS7_PT6_ll16rocsparse_order_21rocsparse_index_base_b.private_seg_size, 0
	.set _ZN9rocsparseL31bsrmm_large_blockdim_kernel_extILj16ELj16ELj2Ell21rocsparse_complex_numIdES2_S2_S2_EEvb20rocsparse_direction_T3_S4_llNS_24const_host_device_scalarIT7_EEPKT2_PKS4_PKT4_S4_PKT5_llS7_PT6_ll16rocsparse_order_21rocsparse_index_base_b.uses_vcc, 1
	.set _ZN9rocsparseL31bsrmm_large_blockdim_kernel_extILj16ELj16ELj2Ell21rocsparse_complex_numIdES2_S2_S2_EEvb20rocsparse_direction_T3_S4_llNS_24const_host_device_scalarIT7_EEPKT2_PKS4_PKT4_S4_PKT5_llS7_PT6_ll16rocsparse_order_21rocsparse_index_base_b.uses_flat_scratch, 0
	.set _ZN9rocsparseL31bsrmm_large_blockdim_kernel_extILj16ELj16ELj2Ell21rocsparse_complex_numIdES2_S2_S2_EEvb20rocsparse_direction_T3_S4_llNS_24const_host_device_scalarIT7_EEPKT2_PKS4_PKT4_S4_PKT5_llS7_PT6_ll16rocsparse_order_21rocsparse_index_base_b.has_dyn_sized_stack, 0
	.set _ZN9rocsparseL31bsrmm_large_blockdim_kernel_extILj16ELj16ELj2Ell21rocsparse_complex_numIdES2_S2_S2_EEvb20rocsparse_direction_T3_S4_llNS_24const_host_device_scalarIT7_EEPKT2_PKS4_PKT4_S4_PKT5_llS7_PT6_ll16rocsparse_order_21rocsparse_index_base_b.has_recursion, 0
	.set _ZN9rocsparseL31bsrmm_large_blockdim_kernel_extILj16ELj16ELj2Ell21rocsparse_complex_numIdES2_S2_S2_EEvb20rocsparse_direction_T3_S4_llNS_24const_host_device_scalarIT7_EEPKT2_PKS4_PKT4_S4_PKT5_llS7_PT6_ll16rocsparse_order_21rocsparse_index_base_b.has_indirect_call, 0
	.section	.AMDGPU.csdata,"",@progbits
; Kernel info:
; codeLenInByte = 2064
; TotalNumSgprs: 51
; NumVgprs: 50
; NumAgprs: 0
; TotalNumVgprs: 50
; ScratchSize: 0
; MemoryBound: 0
; FloatMode: 240
; IeeeMode: 1
; LDSByteSize: 12288 bytes/workgroup (compile time only)
; SGPRBlocks: 6
; VGPRBlocks: 6
; NumSGPRsForWavesPerEU: 51
; NumVGPRsForWavesPerEU: 50
; AccumOffset: 52
; Occupancy: 8
; WaveLimiterHint : 1
; COMPUTE_PGM_RSRC2:SCRATCH_EN: 0
; COMPUTE_PGM_RSRC2:USER_SGPR: 2
; COMPUTE_PGM_RSRC2:TRAP_HANDLER: 0
; COMPUTE_PGM_RSRC2:TGID_X_EN: 1
; COMPUTE_PGM_RSRC2:TGID_Y_EN: 1
; COMPUTE_PGM_RSRC2:TGID_Z_EN: 0
; COMPUTE_PGM_RSRC2:TIDIG_COMP_CNT: 1
; COMPUTE_PGM_RSRC3_GFX90A:ACCUM_OFFSET: 12
; COMPUTE_PGM_RSRC3_GFX90A:TG_SPLIT: 0
	.section	.text._ZN9rocsparseL31bsrmm_large_blockdim_kernel_extILj32ELj32ELj2Ell21rocsparse_complex_numIdES2_S2_S2_EEvb20rocsparse_direction_T3_S4_llNS_24const_host_device_scalarIT7_EEPKT2_PKS4_PKT4_S4_PKT5_llS7_PT6_ll16rocsparse_order_21rocsparse_index_base_b,"axG",@progbits,_ZN9rocsparseL31bsrmm_large_blockdim_kernel_extILj32ELj32ELj2Ell21rocsparse_complex_numIdES2_S2_S2_EEvb20rocsparse_direction_T3_S4_llNS_24const_host_device_scalarIT7_EEPKT2_PKS4_PKT4_S4_PKT5_llS7_PT6_ll16rocsparse_order_21rocsparse_index_base_b,comdat
	.globl	_ZN9rocsparseL31bsrmm_large_blockdim_kernel_extILj32ELj32ELj2Ell21rocsparse_complex_numIdES2_S2_S2_EEvb20rocsparse_direction_T3_S4_llNS_24const_host_device_scalarIT7_EEPKT2_PKS4_PKT4_S4_PKT5_llS7_PT6_ll16rocsparse_order_21rocsparse_index_base_b ; -- Begin function _ZN9rocsparseL31bsrmm_large_blockdim_kernel_extILj32ELj32ELj2Ell21rocsparse_complex_numIdES2_S2_S2_EEvb20rocsparse_direction_T3_S4_llNS_24const_host_device_scalarIT7_EEPKT2_PKS4_PKT4_S4_PKT5_llS7_PT6_ll16rocsparse_order_21rocsparse_index_base_b
	.p2align	8
	.type	_ZN9rocsparseL31bsrmm_large_blockdim_kernel_extILj32ELj32ELj2Ell21rocsparse_complex_numIdES2_S2_S2_EEvb20rocsparse_direction_T3_S4_llNS_24const_host_device_scalarIT7_EEPKT2_PKS4_PKT4_S4_PKT5_llS7_PT6_ll16rocsparse_order_21rocsparse_index_base_b,@function
_ZN9rocsparseL31bsrmm_large_blockdim_kernel_extILj32ELj32ELj2Ell21rocsparse_complex_numIdES2_S2_S2_EEvb20rocsparse_direction_T3_S4_llNS_24const_host_device_scalarIT7_EEPKT2_PKS4_PKT4_S4_PKT5_llS7_PT6_ll16rocsparse_order_21rocsparse_index_base_b: ; @_ZN9rocsparseL31bsrmm_large_blockdim_kernel_extILj32ELj32ELj2Ell21rocsparse_complex_numIdES2_S2_S2_EEvb20rocsparse_direction_T3_S4_llNS_24const_host_device_scalarIT7_EEPKT2_PKS4_PKT4_S4_PKT5_llS7_PT6_ll16rocsparse_order_21rocsparse_index_base_b
; %bb.0:
	s_load_dwordx2 s[4:5], s[0:1], 0x28
	s_load_dwordx4 s[16:19], s[0:1], 0x98
	s_mov_b32 s6, s3
	s_add_u32 s3, s0, 40
	s_addc_u32 s7, s1, 0
	s_add_u32 s10, s0, 0x70
	s_load_dwordx2 s[8:9], s[0:1], 0x70
	s_addc_u32 s11, s1, 0
	s_waitcnt lgkmcnt(0)
	s_bitcmp1_b32 s18, 0
	s_cselect_b32 s5, s7, s5
	s_cselect_b32 s3, s3, s4
	v_mov_b32_e32 v2, s3
	v_mov_b32_e32 v3, s5
	flat_load_dwordx4 v[2:5], v[2:3]
	s_cselect_b32 s3, s11, s9
	s_cselect_b32 s4, s10, s8
	v_mov_b32_e32 v6, s4
	v_mov_b32_e32 v7, s3
	flat_load_dwordx4 v[6:9], v[6:7]
	s_waitcnt vmcnt(0) lgkmcnt(0)
	v_cmp_eq_f64_e32 vcc, 0, v[2:3]
	v_cmp_eq_f64_e64 s[4:5], 0, v[4:5]
	s_and_b64 s[10:11], vcc, s[4:5]
	s_mov_b64 s[4:5], -1
	s_and_saveexec_b64 s[8:9], s[10:11]
; %bb.1:
	v_cmp_neq_f64_e32 vcc, 1.0, v[6:7]
	v_cmp_neq_f64_e64 s[4:5], 0, v[8:9]
	s_or_b64 s[4:5], vcc, s[4:5]
	s_orn2_b64 s[4:5], s[4:5], exec
; %bb.2:
	s_or_b64 exec, exec, s[8:9]
	s_and_saveexec_b64 s[8:9], s[4:5]
	s_cbranch_execz .LBB47_48
; %bb.3:
	s_load_dwordx4 s[12:15], s[0:1], 0x8
	s_load_dwordx2 s[8:9], s[0:1], 0x38
	s_ashr_i32 s3, s2, 31
	v_mov_b64_e32 v[10:11], s[2:3]
	s_mov_b64 s[28:29], 0
	s_waitcnt lgkmcnt(0)
	v_cmp_le_i64_e32 vcc, s[12:13], v[10:11]
	v_cmp_gt_i64_e64 s[4:5], s[12:13], v[10:11]
	s_mov_b64 s[30:31], 0
	s_cbranch_vccnz .LBB47_5
; %bb.4:
	s_lshl_b64 s[10:11], s[2:3], 3
	s_add_u32 s10, s8, s10
	s_addc_u32 s11, s9, s11
	s_load_dwordx2 s[10:11], s[10:11], 0x0
	s_waitcnt lgkmcnt(0)
	s_sub_u32 s30, s10, s17
	s_subb_u32 s31, s11, 0
.LBB47_5:
	s_andn2_b64 vcc, exec, s[4:5]
	s_cbranch_vccnz .LBB47_7
; %bb.6:
	s_lshl_b64 s[10:11], s[2:3], 3
	s_add_u32 s8, s8, s10
	s_addc_u32 s9, s9, s11
	s_load_dwordx2 s[8:9], s[8:9], 0x8
	s_waitcnt lgkmcnt(0)
	s_sub_u32 s28, s8, s17
	s_subb_u32 s29, s9, 0
.LBB47_7:
	s_load_dwordx2 s[18:19], s[0:1], 0x80
	s_load_dwordx2 s[34:35], s[0:1], 0x50
	v_bfe_u32 v24, v0, 10, 10
	v_lshl_add_u32 v20, s6, 6, v24
	v_mov_b32_e32 v21, 0
	v_and_b32_e32 v10, 0x3ff, v0
	v_mov_b64_e32 v[0:1], s[28:29]
	v_add_u32_e32 v14, 32, v20
	v_mov_b32_e32 v15, v21
	v_mov_b32_e32 v11, v21
	v_cmp_ge_i64_e32 vcc, s[30:31], v[0:1]
	s_waitcnt lgkmcnt(0)
	v_cmp_gt_i64_e64 s[6:7], s[34:35], v[10:11]
	v_mov_b64_e32 v[0:1], 0
	s_and_b64 vcc, exec, vcc
	v_cmp_gt_i64_e64 s[8:9], s[14:15], v[20:21]
	v_cmp_gt_i64_e64 s[10:11], s[14:15], v[14:15]
	v_mov_b64_e32 v[12:13], 0
	v_mov_b64_e32 v[16:17], 0
	;; [unrolled: 1-line block ×3, first 2 shown]
	s_cbranch_vccnz .LBB47_25
; %bb.8:
	s_load_dwordx4 s[24:27], s[0:1], 0x40
	s_load_dwordx2 s[38:39], s[0:1], 0x0
	s_mul_i32 s3, s34, s35
	s_mul_hi_u32 s12, s34, s34
	v_mov_b32_e32 v25, v21
	s_add_i32 s12, s12, s3
	v_cmp_gt_i64_e32 vcc, s[34:35], v[24:25]
	s_add_i32 s3, s12, s3
	s_and_b64 s[36:37], s[6:7], vcc
	s_waitcnt lgkmcnt(0)
	s_bitcmp1_b32 s38, 0
	s_load_dwordx4 s[20:23], s[0:1], 0x58
	s_cselect_b64 s[12:13], -1, 0
	s_cmp_eq_u32 s39, 0
	v_mad_u64_u32 v[16:17], s[38:39], s34, v24, 0
	v_mov_b32_e32 v18, v17
	v_mad_u64_u32 v[18:19], s[38:39], s35, v24, v[18:19]
	v_mov_b32_e32 v17, v18
	v_lshlrev_b32_e32 v12, 4, v10
	v_mov_b32_e32 v13, v21
	v_lshlrev_b32_e32 v34, 9, v24
	v_lshl_add_u64 v[16:17], v[16:17], 4, s[26:27]
	s_waitcnt lgkmcnt(0)
	v_lshl_add_u64 v[22:23], s[20:21], 0, v[12:13]
	v_add_u32_e32 v35, v34, v12
	v_lshl_add_u64 v[12:13], v[16:17], 0, v[12:13]
	v_mad_u64_u32 v[16:17], s[38:39], s34, v10, 0
	v_mov_b32_e32 v18, v17
	v_mad_u64_u32 v[18:19], s[38:39], s35, v10, v[18:19]
	v_mov_b32_e32 v17, v18
	v_lshlrev_b32_e32 v0, 4, v24
	v_lshl_add_u64 v[16:17], v[16:17], 4, s[26:27]
	v_mov_b32_e32 v1, v21
	v_lshl_add_u64 v[16:17], v[16:17], 0, v[0:1]
	v_mov_b32_e32 v1, 0x8000
	v_lshl_add_u32 v36, v10, 9, v1
	v_mad_u64_u32 v[24:25], s[26:27], s22, v20, 0
	v_add_u32_e32 v37, v36, v0
	v_mov_b32_e32 v0, v25
	v_mad_u64_u32 v[0:1], s[26:27], s23, v20, v[0:1]
	v_mad_u64_u32 v[26:27], s[26:27], s22, v14, 0
	v_mov_b32_e32 v25, v0
	v_mov_b32_e32 v0, v27
	s_cselect_b64 vcc, -1, 0
	v_cmp_gt_i64_e64 s[38:39], s[34:35], 0
	v_mad_u64_u32 v[0:1], s[26:27], s23, v14, v[0:1]
	s_mul_i32 s33, s34, s34
	v_add_u32_e32 v38, 0x4000, v35
	v_mov_b32_e32 v27, v0
	s_and_b64 s[26:27], s[8:9], s[38:39]
	s_and_b64 s[38:39], s[10:11], s[38:39]
	v_cndmask_b32_e32 v29, v13, v17, vcc
	v_cndmask_b32_e32 v28, v12, v16, vcc
	v_add_u32_e32 v39, 0x4000, v34
	v_mov_b64_e32 v[18:19], 0
	v_mov_b64_e32 v[16:17], 0
	;; [unrolled: 1-line block ×4, first 2 shown]
	s_branch .LBB47_11
.LBB47_9:                               ;   in Loop: Header=BB47_11 Depth=1
	s_or_b64 exec, exec, s[42:43]
.LBB47_10:                              ;   in Loop: Header=BB47_11 Depth=1
	s_or_b64 exec, exec, s[40:41]
	s_add_u32 s30, s30, 1
	s_addc_u32 s31, s31, 0
	v_mov_b64_e32 v[30:31], s[28:29]
	v_cmp_ge_i64_e32 vcc, s[30:31], v[30:31]
	s_barrier
	s_cbranch_vccnz .LBB47_25
.LBB47_11:                              ; =>This Loop Header: Depth=1
                                        ;     Child Loop BB47_21 Depth 2
                                        ;     Child Loop BB47_24 Depth 2
	s_and_saveexec_b64 s[40:41], s[6:7]
	s_cbranch_execz .LBB47_16
; %bb.12:                               ;   in Loop: Header=BB47_11 Depth=1
	s_lshl_b64 s[42:43], s[30:31], 3
	s_add_u32 s42, s24, s42
	s_addc_u32 s43, s25, s43
	s_load_dwordx2 s[42:43], s[42:43], 0x0
	v_mov_b32_e32 v30, s34
	s_waitcnt lgkmcnt(0)
	s_sub_u32 s44, s42, s17
	s_subb_u32 s43, s43, 0
	s_mul_i32 s46, s44, s35
	s_mul_i32 s43, s43, s34
	s_mul_hi_u32 s45, s44, s34
	s_add_i32 s46, s46, s43
	s_mul_i32 s42, s44, s34
	s_add_i32 s43, s46, s45
	v_mad_u64_u32 v[30:31], s[44:45], s44, v30, v[10:11]
	v_add_u32_e32 v31, s46, v31
	v_mul_lo_u32 v32, v31, s22
	v_mul_lo_u32 v33, v30, s23
	v_mad_u64_u32 v[30:31], s[44:45], v30, s22, 0
	v_add3_u32 v31, v31, v33, v32
	v_lshl_add_u64 v[30:31], v[30:31], 4, s[20:21]
	v_lshl_add_u64 v[32:33], s[42:43], 4, v[22:23]
	s_and_saveexec_b64 s[42:43], s[8:9]
	s_cbranch_execz .LBB47_14
; %bb.13:                               ;   in Loop: Header=BB47_11 Depth=1
	v_lshl_add_u64 v[40:41], v[24:25], 4, v[32:33]
	v_lshl_add_u64 v[42:43], v[20:21], 4, v[30:31]
	v_cndmask_b32_e64 v41, v43, v41, s[12:13]
	v_cndmask_b32_e64 v40, v42, v40, s[12:13]
	global_load_dwordx4 v[40:43], v[40:41], off
	s_waitcnt vmcnt(0)
	ds_write2_b64 v35, v[40:41], v[42:43] offset1:1
.LBB47_14:                              ;   in Loop: Header=BB47_11 Depth=1
	s_or_b64 exec, exec, s[42:43]
	s_and_b64 exec, exec, s[10:11]
	s_cbranch_execz .LBB47_16
; %bb.15:                               ;   in Loop: Header=BB47_11 Depth=1
	v_lshl_add_u64 v[32:33], v[26:27], 4, v[32:33]
	v_lshl_add_u64 v[30:31], v[14:15], 4, v[30:31]
	v_cndmask_b32_e64 v31, v31, v33, s[12:13]
	v_cndmask_b32_e64 v30, v30, v32, s[12:13]
	global_load_dwordx4 v[30:33], v[30:31], off
	s_waitcnt vmcnt(0)
	ds_write2_b64 v38, v[30:31], v[32:33] offset1:1
.LBB47_16:                              ;   in Loop: Header=BB47_11 Depth=1
	s_or_b64 exec, exec, s[40:41]
	s_and_saveexec_b64 s[40:41], s[36:37]
	s_cbranch_execz .LBB47_18
; %bb.17:                               ;   in Loop: Header=BB47_11 Depth=1
	s_mul_i32 s42, s33, s31
	s_mul_hi_u32 s43, s33, s30
	s_add_i32 s42, s43, s42
	s_mul_i32 s43, s3, s30
	s_add_i32 s43, s42, s43
	s_mul_i32 s42, s33, s30
	v_lshl_add_u64 v[30:31], s[42:43], 4, v[28:29]
	global_load_dwordx4 v[30:33], v[30:31], off
	s_waitcnt vmcnt(0)
	ds_write2_b64 v37, v[30:31], v[32:33] offset1:1
.LBB47_18:                              ;   in Loop: Header=BB47_11 Depth=1
	s_or_b64 exec, exec, s[40:41]
	s_waitcnt lgkmcnt(0)
	s_barrier
	s_and_saveexec_b64 s[40:41], s[6:7]
	s_cbranch_execz .LBB47_10
; %bb.19:                               ;   in Loop: Header=BB47_11 Depth=1
	s_and_saveexec_b64 s[42:43], s[26:27]
	s_cbranch_execz .LBB47_22
; %bb.20:                               ;   in Loop: Header=BB47_11 Depth=1
	v_mov_b32_e32 v30, v36
	v_mov_b32_e32 v31, v34
	s_mov_b64 s[44:45], s[34:35]
.LBB47_21:                              ;   Parent Loop BB47_11 Depth=1
                                        ; =>  This Inner Loop Header: Depth=2
	ds_read_b128 v[40:43], v30
	ds_read_b128 v[44:47], v31
	s_add_u32 s44, s44, -1
	s_addc_u32 s45, s45, -1
	v_add_u32_e32 v31, 16, v31
	v_add_u32_e32 v30, 16, v30
	s_waitcnt lgkmcnt(0)
	v_fmac_f64_e32 v[0:1], v[40:41], v[44:45]
	v_fmac_f64_e32 v[12:13], v[42:43], v[44:45]
	s_cmp_lg_u64 s[44:45], 0
	v_fma_f64 v[0:1], -v[42:43], v[46:47], v[0:1]
	v_fmac_f64_e32 v[12:13], v[40:41], v[46:47]
	s_cbranch_scc1 .LBB47_21
.LBB47_22:                              ;   in Loop: Header=BB47_11 Depth=1
	s_or_b64 exec, exec, s[42:43]
	s_and_saveexec_b64 s[42:43], s[38:39]
	s_cbranch_execz .LBB47_9
; %bb.23:                               ;   in Loop: Header=BB47_11 Depth=1
	v_mov_b32_e32 v30, v36
	v_mov_b32_e32 v31, v39
	s_mov_b64 s[44:45], s[34:35]
.LBB47_24:                              ;   Parent Loop BB47_11 Depth=1
                                        ; =>  This Inner Loop Header: Depth=2
	ds_read_b128 v[40:43], v30
	ds_read_b128 v[44:47], v31
	s_add_u32 s44, s44, -1
	s_addc_u32 s45, s45, -1
	v_add_u32_e32 v31, 16, v31
	v_add_u32_e32 v30, 16, v30
	s_waitcnt lgkmcnt(0)
	v_fmac_f64_e32 v[16:17], v[40:41], v[44:45]
	v_fmac_f64_e32 v[18:19], v[42:43], v[44:45]
	s_cmp_lg_u64 s[44:45], 0
	v_fma_f64 v[16:17], -v[42:43], v[46:47], v[16:17]
	v_fmac_f64_e32 v[18:19], v[40:41], v[46:47]
	s_cbranch_scc1 .LBB47_24
	s_branch .LBB47_9
.LBB47_25:
	s_and_b64 s[4:5], s[4:5], s[6:7]
	s_and_b64 exec, exec, s[4:5]
	s_cbranch_execz .LBB47_48
; %bb.26:
	v_mov_b32_e32 v22, s2
	v_mad_u64_u32 v[10:11], s[4:5], s34, v22, v[10:11]
	s_mul_i32 s2, s35, s2
	v_add_u32_e32 v11, s2, v11
	s_load_dwordx2 s[2:3], s[0:1], 0x88
	v_cmp_neq_f64_e32 vcc, 0, v[6:7]
	v_cmp_neq_f64_e64 s[0:1], 0, v[8:9]
	s_or_b64 s[4:5], vcc, s[0:1]
	s_cmp_lg_u32 s16, 1
	s_waitcnt lgkmcnt(0)
	v_mul_lo_u32 v24, s3, v10
	v_mul_lo_u32 v25, s2, v11
	v_mad_u64_u32 v[22:23], s[6:7], s2, v10, 0
	v_add3_u32 v23, v23, v25, v24
	s_cselect_b64 s[0:1], -1, 0
	v_lshl_add_u64 v[24:25], v[22:23], 4, s[18:19]
	v_lshl_add_u64 v[22:23], v[10:11], 4, s[18:19]
	v_cmp_gt_i64_e32 vcc, s[14:15], v[20:21]
	s_and_saveexec_b64 s[6:7], vcc
	s_cbranch_execz .LBB47_37
; %bb.27:
	s_and_saveexec_b64 s[8:9], s[4:5]
	s_xor_b64 s[8:9], exec, s[8:9]
	s_cbranch_execz .LBB47_32
; %bb.28:
	s_mov_b64 s[10:11], -1
	s_and_b64 vcc, exec, s[0:1]
	s_cbranch_vccz .LBB47_30
; %bb.29:
	v_lshl_add_u64 v[10:11], v[20:21], 4, v[24:25]
	global_load_dwordx4 v[26:29], v[10:11], off
	v_mul_f64 v[30:31], v[12:13], -v[4:5]
	v_mul_f64 v[32:33], v[2:3], v[12:13]
	v_fmac_f64_e32 v[30:31], v[2:3], v[0:1]
	v_fmac_f64_e32 v[32:33], v[4:5], v[0:1]
	s_mov_b64 s[10:11], 0
	s_waitcnt vmcnt(0)
	v_fmac_f64_e32 v[30:31], v[6:7], v[26:27]
	v_fmac_f64_e32 v[32:33], v[8:9], v[26:27]
	v_fma_f64 v[30:31], -v[8:9], v[28:29], v[30:31]
	v_fmac_f64_e32 v[32:33], v[6:7], v[28:29]
	global_store_dwordx4 v[10:11], v[30:33], off
.LBB47_30:
	s_andn2_b64 vcc, exec, s[10:11]
	s_cbranch_vccnz .LBB47_32
; %bb.31:
	v_mad_u64_u32 v[10:11], s[10:11], s2, v20, 0
	v_mov_b32_e32 v26, v11
	v_mad_u64_u32 v[20:21], s[10:11], s3, v20, v[26:27]
	v_mov_b32_e32 v11, v20
	v_lshl_add_u64 v[20:21], v[10:11], 4, v[22:23]
	global_load_dwordx4 v[26:29], v[20:21], off
	v_mul_f64 v[10:11], v[12:13], -v[4:5]
	v_mul_f64 v[12:13], v[2:3], v[12:13]
	v_fmac_f64_e32 v[10:11], v[2:3], v[0:1]
	v_fmac_f64_e32 v[12:13], v[4:5], v[0:1]
                                        ; implicit-def: $vgpr0_vgpr1
	s_waitcnt vmcnt(0)
	v_fmac_f64_e32 v[10:11], v[6:7], v[26:27]
	v_fmac_f64_e32 v[12:13], v[8:9], v[26:27]
	v_fma_f64 v[10:11], -v[8:9], v[28:29], v[10:11]
	v_fmac_f64_e32 v[12:13], v[6:7], v[28:29]
	global_store_dwordx4 v[20:21], v[10:13], off
                                        ; implicit-def: $vgpr20_vgpr21
                                        ; implicit-def: $vgpr12_vgpr13
.LBB47_32:
	s_andn2_saveexec_b64 s[8:9], s[8:9]
	s_cbranch_execz .LBB47_37
; %bb.33:
	v_mul_f64 v[10:11], v[12:13], -v[4:5]
	v_mul_f64 v[12:13], v[2:3], v[12:13]
	v_fmac_f64_e32 v[10:11], v[2:3], v[0:1]
	v_fmac_f64_e32 v[12:13], v[4:5], v[0:1]
	s_mov_b64 s[8:9], -1
	s_and_b64 vcc, exec, s[0:1]
	s_cbranch_vccz .LBB47_35
; %bb.34:
	v_lshl_add_u64 v[0:1], v[20:21], 4, v[24:25]
	global_store_dwordx4 v[0:1], v[10:13], off
	s_mov_b64 s[8:9], 0
.LBB47_35:
	s_andn2_b64 vcc, exec, s[8:9]
	s_cbranch_vccnz .LBB47_37
; %bb.36:
	v_mad_u64_u32 v[0:1], s[8:9], s2, v20, 0
	v_mov_b32_e32 v26, v1
	v_mad_u64_u32 v[20:21], s[8:9], s3, v20, v[26:27]
	v_mov_b32_e32 v1, v20
	v_lshl_add_u64 v[0:1], v[0:1], 4, v[22:23]
	global_store_dwordx4 v[0:1], v[10:13], off
.LBB47_37:
	s_or_b64 exec, exec, s[6:7]
	v_cmp_gt_i64_e32 vcc, s[14:15], v[14:15]
	s_and_b64 exec, exec, vcc
	s_cbranch_execz .LBB47_48
; %bb.38:
	v_cndmask_b32_e64 v0, 0, 1, s[0:1]
	v_cmp_ne_u32_e64 s[0:1], 1, v0
	s_and_saveexec_b64 s[6:7], s[4:5]
	s_xor_b64 s[4:5], exec, s[6:7]
	s_cbranch_execz .LBB47_43
; %bb.39:
	s_and_b64 vcc, exec, s[0:1]
	s_mov_b64 s[6:7], -1
	s_cbranch_vccnz .LBB47_41
; %bb.40:
	v_lshl_add_u64 v[0:1], v[14:15], 4, v[24:25]
	global_load_dwordx4 v[10:13], v[0:1], off
	v_mul_f64 v[20:21], v[18:19], -v[4:5]
	v_mul_f64 v[26:27], v[2:3], v[18:19]
	v_fmac_f64_e32 v[20:21], v[2:3], v[16:17]
	v_fmac_f64_e32 v[26:27], v[4:5], v[16:17]
	s_mov_b64 s[6:7], 0
	s_waitcnt vmcnt(0)
	v_fmac_f64_e32 v[20:21], v[6:7], v[10:11]
	v_fmac_f64_e32 v[26:27], v[8:9], v[10:11]
	v_fma_f64 v[24:25], -v[8:9], v[12:13], v[20:21]
	v_fmac_f64_e32 v[26:27], v[6:7], v[12:13]
	global_store_dwordx4 v[0:1], v[24:27], off
.LBB47_41:
	s_andn2_b64 vcc, exec, s[6:7]
                                        ; implicit-def: $vgpr24_vgpr25
	s_cbranch_vccnz .LBB47_43
; %bb.42:
	v_mad_u64_u32 v[0:1], s[6:7], s2, v14, 0
	v_mov_b32_e32 v10, v1
	v_mad_u64_u32 v[10:11], s[6:7], s3, v14, v[10:11]
	v_mov_b32_e32 v1, v10
	v_lshl_add_u64 v[0:1], v[0:1], 4, v[22:23]
	global_load_dwordx4 v[10:13], v[0:1], off
	v_mul_f64 v[14:15], v[18:19], -v[4:5]
	v_mul_f64 v[18:19], v[2:3], v[18:19]
	v_fmac_f64_e32 v[14:15], v[2:3], v[16:17]
	v_fmac_f64_e32 v[18:19], v[4:5], v[16:17]
                                        ; implicit-def: $vgpr22_vgpr23
                                        ; implicit-def: $vgpr4_vgpr5
                                        ; implicit-def: $vgpr24_vgpr25
	s_waitcnt vmcnt(0)
	v_fmac_f64_e32 v[14:15], v[6:7], v[10:11]
	v_fmac_f64_e32 v[18:19], v[8:9], v[10:11]
	v_fma_f64 v[16:17], -v[8:9], v[12:13], v[14:15]
	v_fmac_f64_e32 v[18:19], v[6:7], v[12:13]
	global_store_dwordx4 v[0:1], v[16:19], off
                                        ; implicit-def: $vgpr14_vgpr15
                                        ; implicit-def: $vgpr18_vgpr19
                                        ; implicit-def: $vgpr16_vgpr17
.LBB47_43:
	s_andn2_saveexec_b64 s[4:5], s[4:5]
	s_cbranch_execz .LBB47_48
; %bb.44:
	v_mul_f64 v[0:1], v[18:19], -v[4:5]
	v_fmac_f64_e32 v[0:1], v[2:3], v[16:17]
	v_mul_f64 v[2:3], v[2:3], v[18:19]
	v_fmac_f64_e32 v[2:3], v[4:5], v[16:17]
	s_and_b64 vcc, exec, s[0:1]
	s_mov_b64 s[0:1], -1
	s_cbranch_vccnz .LBB47_46
; %bb.45:
	v_lshl_add_u64 v[4:5], v[14:15], 4, v[24:25]
	s_mov_b64 s[0:1], 0
	global_store_dwordx4 v[4:5], v[0:3], off
.LBB47_46:
	s_andn2_b64 vcc, exec, s[0:1]
	s_cbranch_vccnz .LBB47_48
; %bb.47:
	v_mad_u64_u32 v[4:5], s[0:1], s2, v14, 0
	v_mov_b32_e32 v6, v5
	v_mad_u64_u32 v[6:7], s[0:1], s3, v14, v[6:7]
	v_mov_b32_e32 v5, v6
	v_lshl_add_u64 v[4:5], v[4:5], 4, v[22:23]
	global_store_dwordx4 v[4:5], v[0:3], off
.LBB47_48:
	s_endpgm
	.section	.rodata,"a",@progbits
	.p2align	6, 0x0
	.amdhsa_kernel _ZN9rocsparseL31bsrmm_large_blockdim_kernel_extILj32ELj32ELj2Ell21rocsparse_complex_numIdES2_S2_S2_EEvb20rocsparse_direction_T3_S4_llNS_24const_host_device_scalarIT7_EEPKT2_PKS4_PKT4_S4_PKT5_llS7_PT6_ll16rocsparse_order_21rocsparse_index_base_b
		.amdhsa_group_segment_fixed_size 49152
		.amdhsa_private_segment_fixed_size 0
		.amdhsa_kernarg_size 164
		.amdhsa_user_sgpr_count 2
		.amdhsa_user_sgpr_dispatch_ptr 0
		.amdhsa_user_sgpr_queue_ptr 0
		.amdhsa_user_sgpr_kernarg_segment_ptr 1
		.amdhsa_user_sgpr_dispatch_id 0
		.amdhsa_user_sgpr_kernarg_preload_length 0
		.amdhsa_user_sgpr_kernarg_preload_offset 0
		.amdhsa_user_sgpr_private_segment_size 0
		.amdhsa_uses_dynamic_stack 0
		.amdhsa_enable_private_segment 0
		.amdhsa_system_sgpr_workgroup_id_x 1
		.amdhsa_system_sgpr_workgroup_id_y 1
		.amdhsa_system_sgpr_workgroup_id_z 0
		.amdhsa_system_sgpr_workgroup_info 0
		.amdhsa_system_vgpr_workitem_id 1
		.amdhsa_next_free_vgpr 48
		.amdhsa_next_free_sgpr 47
		.amdhsa_accum_offset 48
		.amdhsa_reserve_vcc 1
		.amdhsa_float_round_mode_32 0
		.amdhsa_float_round_mode_16_64 0
		.amdhsa_float_denorm_mode_32 3
		.amdhsa_float_denorm_mode_16_64 3
		.amdhsa_dx10_clamp 1
		.amdhsa_ieee_mode 1
		.amdhsa_fp16_overflow 0
		.amdhsa_tg_split 0
		.amdhsa_exception_fp_ieee_invalid_op 0
		.amdhsa_exception_fp_denorm_src 0
		.amdhsa_exception_fp_ieee_div_zero 0
		.amdhsa_exception_fp_ieee_overflow 0
		.amdhsa_exception_fp_ieee_underflow 0
		.amdhsa_exception_fp_ieee_inexact 0
		.amdhsa_exception_int_div_zero 0
	.end_amdhsa_kernel
	.section	.text._ZN9rocsparseL31bsrmm_large_blockdim_kernel_extILj32ELj32ELj2Ell21rocsparse_complex_numIdES2_S2_S2_EEvb20rocsparse_direction_T3_S4_llNS_24const_host_device_scalarIT7_EEPKT2_PKS4_PKT4_S4_PKT5_llS7_PT6_ll16rocsparse_order_21rocsparse_index_base_b,"axG",@progbits,_ZN9rocsparseL31bsrmm_large_blockdim_kernel_extILj32ELj32ELj2Ell21rocsparse_complex_numIdES2_S2_S2_EEvb20rocsparse_direction_T3_S4_llNS_24const_host_device_scalarIT7_EEPKT2_PKS4_PKT4_S4_PKT5_llS7_PT6_ll16rocsparse_order_21rocsparse_index_base_b,comdat
.Lfunc_end47:
	.size	_ZN9rocsparseL31bsrmm_large_blockdim_kernel_extILj32ELj32ELj2Ell21rocsparse_complex_numIdES2_S2_S2_EEvb20rocsparse_direction_T3_S4_llNS_24const_host_device_scalarIT7_EEPKT2_PKS4_PKT4_S4_PKT5_llS7_PT6_ll16rocsparse_order_21rocsparse_index_base_b, .Lfunc_end47-_ZN9rocsparseL31bsrmm_large_blockdim_kernel_extILj32ELj32ELj2Ell21rocsparse_complex_numIdES2_S2_S2_EEvb20rocsparse_direction_T3_S4_llNS_24const_host_device_scalarIT7_EEPKT2_PKS4_PKT4_S4_PKT5_llS7_PT6_ll16rocsparse_order_21rocsparse_index_base_b
                                        ; -- End function
	.set _ZN9rocsparseL31bsrmm_large_blockdim_kernel_extILj32ELj32ELj2Ell21rocsparse_complex_numIdES2_S2_S2_EEvb20rocsparse_direction_T3_S4_llNS_24const_host_device_scalarIT7_EEPKT2_PKS4_PKT4_S4_PKT5_llS7_PT6_ll16rocsparse_order_21rocsparse_index_base_b.num_vgpr, 48
	.set _ZN9rocsparseL31bsrmm_large_blockdim_kernel_extILj32ELj32ELj2Ell21rocsparse_complex_numIdES2_S2_S2_EEvb20rocsparse_direction_T3_S4_llNS_24const_host_device_scalarIT7_EEPKT2_PKS4_PKT4_S4_PKT5_llS7_PT6_ll16rocsparse_order_21rocsparse_index_base_b.num_agpr, 0
	.set _ZN9rocsparseL31bsrmm_large_blockdim_kernel_extILj32ELj32ELj2Ell21rocsparse_complex_numIdES2_S2_S2_EEvb20rocsparse_direction_T3_S4_llNS_24const_host_device_scalarIT7_EEPKT2_PKS4_PKT4_S4_PKT5_llS7_PT6_ll16rocsparse_order_21rocsparse_index_base_b.numbered_sgpr, 47
	.set _ZN9rocsparseL31bsrmm_large_blockdim_kernel_extILj32ELj32ELj2Ell21rocsparse_complex_numIdES2_S2_S2_EEvb20rocsparse_direction_T3_S4_llNS_24const_host_device_scalarIT7_EEPKT2_PKS4_PKT4_S4_PKT5_llS7_PT6_ll16rocsparse_order_21rocsparse_index_base_b.num_named_barrier, 0
	.set _ZN9rocsparseL31bsrmm_large_blockdim_kernel_extILj32ELj32ELj2Ell21rocsparse_complex_numIdES2_S2_S2_EEvb20rocsparse_direction_T3_S4_llNS_24const_host_device_scalarIT7_EEPKT2_PKS4_PKT4_S4_PKT5_llS7_PT6_ll16rocsparse_order_21rocsparse_index_base_b.private_seg_size, 0
	.set _ZN9rocsparseL31bsrmm_large_blockdim_kernel_extILj32ELj32ELj2Ell21rocsparse_complex_numIdES2_S2_S2_EEvb20rocsparse_direction_T3_S4_llNS_24const_host_device_scalarIT7_EEPKT2_PKS4_PKT4_S4_PKT5_llS7_PT6_ll16rocsparse_order_21rocsparse_index_base_b.uses_vcc, 1
	.set _ZN9rocsparseL31bsrmm_large_blockdim_kernel_extILj32ELj32ELj2Ell21rocsparse_complex_numIdES2_S2_S2_EEvb20rocsparse_direction_T3_S4_llNS_24const_host_device_scalarIT7_EEPKT2_PKS4_PKT4_S4_PKT5_llS7_PT6_ll16rocsparse_order_21rocsparse_index_base_b.uses_flat_scratch, 0
	.set _ZN9rocsparseL31bsrmm_large_blockdim_kernel_extILj32ELj32ELj2Ell21rocsparse_complex_numIdES2_S2_S2_EEvb20rocsparse_direction_T3_S4_llNS_24const_host_device_scalarIT7_EEPKT2_PKS4_PKT4_S4_PKT5_llS7_PT6_ll16rocsparse_order_21rocsparse_index_base_b.has_dyn_sized_stack, 0
	.set _ZN9rocsparseL31bsrmm_large_blockdim_kernel_extILj32ELj32ELj2Ell21rocsparse_complex_numIdES2_S2_S2_EEvb20rocsparse_direction_T3_S4_llNS_24const_host_device_scalarIT7_EEPKT2_PKS4_PKT4_S4_PKT5_llS7_PT6_ll16rocsparse_order_21rocsparse_index_base_b.has_recursion, 0
	.set _ZN9rocsparseL31bsrmm_large_blockdim_kernel_extILj32ELj32ELj2Ell21rocsparse_complex_numIdES2_S2_S2_EEvb20rocsparse_direction_T3_S4_llNS_24const_host_device_scalarIT7_EEPKT2_PKS4_PKT4_S4_PKT5_llS7_PT6_ll16rocsparse_order_21rocsparse_index_base_b.has_indirect_call, 0
	.section	.AMDGPU.csdata,"",@progbits
; Kernel info:
; codeLenInByte = 2064
; TotalNumSgprs: 53
; NumVgprs: 48
; NumAgprs: 0
; TotalNumVgprs: 48
; ScratchSize: 0
; MemoryBound: 0
; FloatMode: 240
; IeeeMode: 1
; LDSByteSize: 49152 bytes/workgroup (compile time only)
; SGPRBlocks: 6
; VGPRBlocks: 5
; NumSGPRsForWavesPerEU: 53
; NumVGPRsForWavesPerEU: 48
; AccumOffset: 48
; Occupancy: 8
; WaveLimiterHint : 1
; COMPUTE_PGM_RSRC2:SCRATCH_EN: 0
; COMPUTE_PGM_RSRC2:USER_SGPR: 2
; COMPUTE_PGM_RSRC2:TRAP_HANDLER: 0
; COMPUTE_PGM_RSRC2:TGID_X_EN: 1
; COMPUTE_PGM_RSRC2:TGID_Y_EN: 1
; COMPUTE_PGM_RSRC2:TGID_Z_EN: 0
; COMPUTE_PGM_RSRC2:TIDIG_COMP_CNT: 1
; COMPUTE_PGM_RSRC3_GFX90A:ACCUM_OFFSET: 11
; COMPUTE_PGM_RSRC3_GFX90A:TG_SPLIT: 0
	.section	.text._ZN9rocsparseL31bsrmm_large_blockdim_kernel_extILj8ELj8ELj2EiiDF16_DF16_ffEEvb20rocsparse_direction_T3_S2_llNS_24const_host_device_scalarIT7_EEPKT2_PKS2_PKT4_S2_PKT5_llS5_PT6_ll16rocsparse_order_21rocsparse_index_base_b,"axG",@progbits,_ZN9rocsparseL31bsrmm_large_blockdim_kernel_extILj8ELj8ELj2EiiDF16_DF16_ffEEvb20rocsparse_direction_T3_S2_llNS_24const_host_device_scalarIT7_EEPKT2_PKS2_PKT4_S2_PKT5_llS5_PT6_ll16rocsparse_order_21rocsparse_index_base_b,comdat
	.globl	_ZN9rocsparseL31bsrmm_large_blockdim_kernel_extILj8ELj8ELj2EiiDF16_DF16_ffEEvb20rocsparse_direction_T3_S2_llNS_24const_host_device_scalarIT7_EEPKT2_PKS2_PKT4_S2_PKT5_llS5_PT6_ll16rocsparse_order_21rocsparse_index_base_b ; -- Begin function _ZN9rocsparseL31bsrmm_large_blockdim_kernel_extILj8ELj8ELj2EiiDF16_DF16_ffEEvb20rocsparse_direction_T3_S2_llNS_24const_host_device_scalarIT7_EEPKT2_PKS2_PKT4_S2_PKT5_llS5_PT6_ll16rocsparse_order_21rocsparse_index_base_b
	.p2align	8
	.type	_ZN9rocsparseL31bsrmm_large_blockdim_kernel_extILj8ELj8ELj2EiiDF16_DF16_ffEEvb20rocsparse_direction_T3_S2_llNS_24const_host_device_scalarIT7_EEPKT2_PKS2_PKT4_S2_PKT5_llS5_PT6_ll16rocsparse_order_21rocsparse_index_base_b,@function
_ZN9rocsparseL31bsrmm_large_blockdim_kernel_extILj8ELj8ELj2EiiDF16_DF16_ffEEvb20rocsparse_direction_T3_S2_llNS_24const_host_device_scalarIT7_EEPKT2_PKS2_PKT4_S2_PKT5_llS5_PT6_ll16rocsparse_order_21rocsparse_index_base_b: ; @_ZN9rocsparseL31bsrmm_large_blockdim_kernel_extILj8ELj8ELj2EiiDF16_DF16_ffEEvb20rocsparse_direction_T3_S2_llNS_24const_host_device_scalarIT7_EEPKT2_PKS2_PKT4_S2_PKT5_llS5_PT6_ll16rocsparse_order_21rocsparse_index_base_b
; %bb.0:
	s_load_dwordx4 s[16:19], s[0:1], 0x80
	s_mov_b32 s4, s3
	s_waitcnt lgkmcnt(0)
	s_bitcmp1_b32 s18, 0
	s_load_dwordx2 s[18:19], s[0:1], 0x20
	s_load_dwordx2 s[28:29], s[0:1], 0x60
	s_cselect_b64 s[8:9], -1, 0
	s_xor_b64 s[6:7], s[8:9], -1
	s_and_b64 vcc, exec, s[8:9]
	s_cbranch_vccnz .LBB48_2
; %bb.1:
	s_waitcnt lgkmcnt(0)
	s_load_dword s18, s[18:19], 0x0
.LBB48_2:
	s_andn2_b64 vcc, exec, s[6:7]
	s_cbranch_vccnz .LBB48_4
; %bb.3:
	s_waitcnt lgkmcnt(0)
	s_load_dword s28, s[28:29], 0x0
.LBB48_4:
	s_waitcnt lgkmcnt(0)
	v_cmp_eq_f32_e64 s[6:7], s18, 0
	v_cmp_eq_f32_e64 s[8:9], s28, 1.0
	s_and_b64 s[6:7], s[6:7], s[8:9]
	s_mov_b32 s34, 0
	s_and_b64 vcc, exec, s[6:7]
	s_cbranch_vccnz .LBB48_48
; %bb.5:
	s_load_dwordx4 s[12:15], s[0:1], 0x0
	s_load_dwordx2 s[6:7], s[0:1], 0x28
	s_waitcnt lgkmcnt(0)
	s_cmp_lt_i32 s2, s14
	s_cselect_b64 s[30:31], -1, 0
	s_cmp_ge_i32 s2, s14
	s_cbranch_scc1 .LBB48_7
; %bb.6:
	s_ashr_i32 s3, s2, 31
	s_lshl_b64 s[8:9], s[2:3], 2
	s_add_u32 s8, s6, s8
	s_addc_u32 s9, s7, s9
	s_load_dword s3, s[8:9], 0x0
	s_waitcnt lgkmcnt(0)
	s_sub_i32 s34, s3, s17
.LBB48_7:
	s_andn2_b64 vcc, exec, s[30:31]
	s_mov_b32 s14, 0
	s_cbranch_vccnz .LBB48_9
; %bb.8:
	s_ashr_i32 s3, s2, 31
	s_lshl_b64 s[8:9], s[2:3], 2
	s_add_u32 s6, s6, s8
	s_addc_u32 s7, s7, s9
	s_load_dword s3, s[6:7], 0x4
	s_waitcnt lgkmcnt(0)
	s_sub_i32 s14, s3, s17
.LBB48_9:
	s_load_dwordx2 s[36:37], s[0:1], 0x68
	s_load_dword s3, s[0:1], 0x40
	v_bfe_u32 v8, v0, 10, 10
	v_lshl_add_u32 v4, s4, 4, v8
	v_add_u32_e32 v2, 8, v4
	v_and_b32_e32 v6, 0x3ff, v0
	s_waitcnt lgkmcnt(0)
	v_cmp_gt_i32_e32 vcc, s3, v6
	s_cmp_ge_i32 s34, s14
	v_cmp_gt_i32_e64 s[4:5], s15, v4
	v_cmp_gt_i32_e64 s[6:7], s15, v2
	s_cbranch_scc1 .LBB48_27
; %bb.10:
	s_load_dwordx4 s[20:23], s[0:1], 0x30
	s_load_dwordx4 s[24:27], s[0:1], 0x48
	v_cmp_gt_i32_e64 s[8:9], s3, v8
	s_and_b64 s[38:39], vcc, s[8:9]
	v_mov_b32_e32 v0, 0x200
	v_lshlrev_b32_e32 v7, 5, v8
	s_bitcmp1_b32 s12, 0
	v_lshl_add_u32 v14, v8, 2, v0
	v_mad_u64_u32 v[0:1], s[10:11], s3, v8, v[6:7]
	v_ashrrev_i32_e32 v5, 31, v4
	s_cselect_b64 s[8:9], -1, 0
	s_cmp_eq_u32 s13, 0
	v_mad_u64_u32 v[12:13], s[10:11], s3, v6, v[8:9]
	s_waitcnt lgkmcnt(0)
	v_mul_lo_u32 v1, s27, v4
	v_mul_lo_u32 v3, s26, v5
	v_mad_u64_u32 v[8:9], s[10:11], s26, v4, 0
	v_mad_u64_u32 v[10:11], s[10:11], s26, v2, 0
	v_add3_u32 v9, v9, v3, v1
	v_ashrrev_i32_e32 v3, 31, v2
	s_cselect_b64 s[10:11], -1, 0
	v_lshlrev_b32_e32 v15, 2, v6
	v_lshlrev_b32_e32 v20, 5, v6
	v_mul_lo_u32 v1, s27, v2
	v_mul_lo_u32 v13, s26, v3
	v_cndmask_b32_e64 v16, v0, v12, s[10:11]
	v_mov_b32_e32 v0, 0
	s_mul_i32 s19, s3, s3
	v_add3_u32 v11, v11, v13, v1
	v_add_u32_e32 v17, 0x200, v20
	v_add_u32_e32 v18, 0x100, v7
	v_mov_b32_e32 v1, v0
	v_add_u32_e32 v19, v15, v7
	v_add_u32_e32 v20, v14, v20
	s_branch .LBB48_13
.LBB48_11:                              ;   in Loop: Header=BB48_13 Depth=1
	s_or_b64 exec, exec, s[12:13]
.LBB48_12:                              ;   in Loop: Header=BB48_13 Depth=1
	s_or_b64 exec, exec, s[10:11]
	s_add_i32 s34, s34, 1
	s_cmp_ge_i32 s34, s14
	; wave barrier
	s_cbranch_scc1 .LBB48_28
.LBB48_13:                              ; =>This Loop Header: Depth=1
                                        ;     Child Loop BB48_23 Depth 2
                                        ;     Child Loop BB48_26 Depth 2
	s_and_saveexec_b64 s[10:11], vcc
	s_cbranch_execz .LBB48_18
; %bb.14:                               ;   in Loop: Header=BB48_13 Depth=1
	s_ashr_i32 s35, s34, 31
	s_lshl_b64 s[12:13], s[34:35], 2
	s_add_u32 s12, s20, s12
	s_addc_u32 s13, s21, s13
	s_load_dword s12, s[12:13], 0x0
	s_waitcnt lgkmcnt(0)
	s_sub_i32 s12, s12, s17
	s_mul_i32 s12, s12, s3
	v_add_u32_e32 v14, s12, v6
	v_ashrrev_i32_e32 v15, 31, v14
	v_mul_lo_u32 v21, s27, v14
	v_mad_u64_u32 v[12:13], s[12:13], s26, v14, 0
	v_mul_lo_u32 v22, s26, v15
	v_add3_u32 v13, v13, v22, v21
	v_lshl_add_u64 v[12:13], v[12:13], 1, s[24:25]
	v_lshl_add_u64 v[14:15], v[14:15], 1, s[24:25]
	s_and_saveexec_b64 s[12:13], s[4:5]
	s_cbranch_execz .LBB48_16
; %bb.15:                               ;   in Loop: Header=BB48_13 Depth=1
	v_lshl_add_u64 v[22:23], v[4:5], 1, v[12:13]
	v_lshl_add_u64 v[24:25], v[8:9], 1, v[14:15]
	v_cndmask_b32_e64 v23, v23, v25, s[8:9]
	v_cndmask_b32_e64 v22, v22, v24, s[8:9]
	global_load_ushort v21, v[22:23], off
	s_waitcnt vmcnt(0)
	v_cvt_f32_f16_e32 v21, v21
	ds_write_b32 v19, v21
.LBB48_16:                              ;   in Loop: Header=BB48_13 Depth=1
	s_or_b64 exec, exec, s[12:13]
	s_and_b64 exec, exec, s[6:7]
	s_cbranch_execz .LBB48_18
; %bb.17:                               ;   in Loop: Header=BB48_13 Depth=1
	v_lshl_add_u64 v[14:15], v[10:11], 1, v[14:15]
	v_lshl_add_u64 v[12:13], v[2:3], 1, v[12:13]
	v_cndmask_b32_e64 v13, v13, v15, s[8:9]
	v_cndmask_b32_e64 v12, v12, v14, s[8:9]
	global_load_ushort v12, v[12:13], off
	s_waitcnt vmcnt(0)
	v_cvt_f32_f16_e32 v12, v12
	ds_write_b32 v19, v12 offset:256
.LBB48_18:                              ;   in Loop: Header=BB48_13 Depth=1
	s_or_b64 exec, exec, s[10:11]
	s_and_saveexec_b64 s[10:11], s[38:39]
	s_cbranch_execz .LBB48_20
; %bb.19:                               ;   in Loop: Header=BB48_13 Depth=1
	s_mul_i32 s12, s19, s34
	v_add_u32_e32 v12, s12, v16
	v_ashrrev_i32_e32 v13, 31, v12
	v_lshl_add_u64 v[12:13], v[12:13], 1, s[22:23]
	global_load_ushort v12, v[12:13], off
	s_waitcnt vmcnt(0)
	v_cvt_f32_f16_e32 v12, v12
	ds_write_b32 v20, v12
.LBB48_20:                              ;   in Loop: Header=BB48_13 Depth=1
	s_or_b64 exec, exec, s[10:11]
	s_waitcnt lgkmcnt(0)
	; wave barrier
	s_and_saveexec_b64 s[10:11], vcc
	s_cbranch_execz .LBB48_12
; %bb.21:                               ;   in Loop: Header=BB48_13 Depth=1
	s_and_saveexec_b64 s[12:13], s[4:5]
	s_cbranch_execz .LBB48_24
; %bb.22:                               ;   in Loop: Header=BB48_13 Depth=1
	v_mov_b32_e32 v12, v17
	v_mov_b32_e32 v13, v7
	s_mov_b32 s29, s3
.LBB48_23:                              ;   Parent Loop BB48_13 Depth=1
                                        ; =>  This Inner Loop Header: Depth=2
	ds_read_b32 v14, v12
	ds_read_b32 v15, v13
	s_add_i32 s29, s29, -1
	v_add_u32_e32 v13, 4, v13
	v_add_u32_e32 v12, 4, v12
	s_cmp_lg_u32 s29, 0
	s_waitcnt lgkmcnt(0)
	v_fma_f32 v0, v14, v15, v0
	s_cbranch_scc1 .LBB48_23
.LBB48_24:                              ;   in Loop: Header=BB48_13 Depth=1
	s_or_b64 exec, exec, s[12:13]
	s_and_saveexec_b64 s[12:13], s[6:7]
	s_cbranch_execz .LBB48_11
; %bb.25:                               ;   in Loop: Header=BB48_13 Depth=1
	v_mov_b32_e32 v12, v17
	s_mov_b32 s29, s3
	v_mov_b32_e32 v13, v18
.LBB48_26:                              ;   Parent Loop BB48_13 Depth=1
                                        ; =>  This Inner Loop Header: Depth=2
	ds_read_b32 v14, v12
	ds_read_b32 v15, v13
	s_add_i32 s29, s29, -1
	v_add_u32_e32 v13, 4, v13
	v_add_u32_e32 v12, 4, v12
	s_cmp_lg_u32 s29, 0
	s_waitcnt lgkmcnt(0)
	v_fma_f32 v1, v14, v15, v1
	s_cbranch_scc1 .LBB48_26
	s_branch .LBB48_11
.LBB48_27:
	v_mov_b32_e32 v0, 0
	v_mov_b32_e32 v1, v0
.LBB48_28:
	s_and_b64 s[4:5], s[30:31], vcc
	s_and_saveexec_b64 s[6:7], s[4:5]
	s_cbranch_execz .LBB48_48
; %bb.29:
	s_mul_i32 s2, s3, s2
	v_add_u32_e32 v6, s2, v6
	s_load_dwordx2 s[2:3], s[0:1], 0x70
	v_ashrrev_i32_e32 v7, 31, v6
	s_cmp_lg_u32 s16, 1
	v_cmp_neq_f32_e64 s[0:1], s28, 0
	s_cselect_b64 s[4:5], -1, 0
	s_waitcnt lgkmcnt(0)
	v_mul_lo_u32 v3, s2, v7
	v_mul_lo_u32 v5, s3, v6
	v_mad_u64_u32 v[8:9], s[6:7], s2, v6, 0
	v_add3_u32 v9, v9, v3, v5
	v_lshl_add_u64 v[8:9], v[8:9], 2, s[36:37]
	v_lshl_add_u64 v[6:7], v[6:7], 2, s[36:37]
	v_cmp_gt_i32_e32 vcc, s15, v4
	s_and_saveexec_b64 s[6:7], vcc
	s_cbranch_execz .LBB48_41
; %bb.30:
	s_and_b64 vcc, exec, s[0:1]
	v_ashrrev_i32_e32 v5, 31, v4
	s_mov_b64 s[8:9], -1
	s_cbranch_vccz .LBB48_36
; %bb.31:
	s_and_b64 vcc, exec, s[4:5]
	s_cbranch_vccz .LBB48_33
; %bb.32:
	v_lshl_add_u64 v[10:11], v[4:5], 2, v[8:9]
	global_load_dword v3, v[10:11], off
	v_mul_f32_e32 v12, s18, v0
	s_mov_b64 s[8:9], 0
	s_waitcnt vmcnt(0)
	v_fmac_f32_e32 v12, s28, v3
	global_store_dword v[10:11], v12, off
.LBB48_33:
	s_andn2_b64 vcc, exec, s[8:9]
	s_cbranch_vccnz .LBB48_35
; %bb.34:
	v_mul_lo_u32 v3, s3, v4
	v_mul_lo_u32 v12, s2, v5
	v_mad_u64_u32 v[10:11], s[8:9], s2, v4, 0
	v_add3_u32 v11, v11, v12, v3
	v_lshl_add_u64 v[10:11], v[10:11], 2, v[6:7]
	global_load_dword v3, v[10:11], off
	v_mul_f32_e32 v12, s18, v0
	s_waitcnt vmcnt(0)
	v_fmac_f32_e32 v12, s28, v3
	global_store_dword v[10:11], v12, off
.LBB48_35:
	s_mov_b64 s[8:9], 0
.LBB48_36:
	s_andn2_b64 vcc, exec, s[8:9]
	s_cbranch_vccnz .LBB48_41
; %bb.37:
	v_mul_f32_e32 v0, s18, v0
	s_mov_b64 s[8:9], -1
	s_and_b64 vcc, exec, s[4:5]
	s_cbranch_vccz .LBB48_39
; %bb.38:
	v_lshl_add_u64 v[10:11], v[4:5], 2, v[8:9]
	global_store_dword v[10:11], v0, off
	s_mov_b64 s[8:9], 0
.LBB48_39:
	s_andn2_b64 vcc, exec, s[8:9]
	s_cbranch_vccnz .LBB48_41
; %bb.40:
	v_mul_lo_u32 v3, s3, v4
	v_mul_lo_u32 v10, s2, v5
	v_mad_u64_u32 v[4:5], s[8:9], s2, v4, 0
	v_add3_u32 v5, v5, v10, v3
	v_lshl_add_u64 v[4:5], v[4:5], 2, v[6:7]
	global_store_dword v[4:5], v0, off
.LBB48_41:
	s_or_b64 exec, exec, s[6:7]
	v_cmp_gt_i32_e32 vcc, s15, v2
	s_and_b64 exec, exec, vcc
	s_cbranch_execz .LBB48_48
; %bb.42:
	v_cndmask_b32_e64 v0, 0, 1, s[4:5]
	s_andn2_b64 vcc, exec, s[0:1]
	v_ashrrev_i32_e32 v3, 31, v2
	v_cmp_ne_u32_e64 s[0:1], 1, v0
	s_cbranch_vccnz .LBB48_49
; %bb.43:
	s_and_b64 vcc, exec, s[0:1]
	s_mov_b64 s[4:5], -1
	s_cbranch_vccnz .LBB48_45
; %bb.44:
	v_lshl_add_u64 v[4:5], v[2:3], 2, v[8:9]
	global_load_dword v0, v[4:5], off
	v_mul_f32_e32 v10, s18, v1
	s_mov_b64 s[4:5], 0
	s_waitcnt vmcnt(0)
	v_fmac_f32_e32 v10, s28, v0
	global_store_dword v[4:5], v10, off
.LBB48_45:
	s_andn2_b64 vcc, exec, s[4:5]
	s_cbranch_vccnz .LBB48_47
; %bb.46:
	v_mul_lo_u32 v0, s3, v2
	v_mul_lo_u32 v10, s2, v3
	v_mad_u64_u32 v[4:5], s[4:5], s2, v2, 0
	v_add3_u32 v5, v5, v10, v0
	v_lshl_add_u64 v[4:5], v[4:5], 2, v[6:7]
	global_load_dword v0, v[4:5], off
	v_mul_f32_e32 v10, s18, v1
	s_waitcnt vmcnt(0)
	v_fmac_f32_e32 v10, s28, v0
	global_store_dword v[4:5], v10, off
.LBB48_47:
	s_cbranch_execz .LBB48_50
.LBB48_48:
	s_endpgm
.LBB48_49:
.LBB48_50:
	v_mul_f32_e32 v0, s18, v1
	s_and_b64 vcc, exec, s[0:1]
	s_mov_b64 s[0:1], -1
	s_cbranch_vccnz .LBB48_52
; %bb.51:
	v_lshl_add_u64 v[4:5], v[2:3], 2, v[8:9]
	s_mov_b64 s[0:1], 0
	global_store_dword v[4:5], v0, off
.LBB48_52:
	s_andn2_b64 vcc, exec, s[0:1]
	s_cbranch_vccnz .LBB48_48
; %bb.53:
	v_mul_lo_u32 v1, s3, v2
	v_mul_lo_u32 v4, s2, v3
	v_mad_u64_u32 v[2:3], s[0:1], s2, v2, 0
	v_add3_u32 v3, v3, v4, v1
	v_lshl_add_u64 v[2:3], v[2:3], 2, v[6:7]
	global_store_dword v[2:3], v0, off
	s_endpgm
	.section	.rodata,"a",@progbits
	.p2align	6, 0x0
	.amdhsa_kernel _ZN9rocsparseL31bsrmm_large_blockdim_kernel_extILj8ELj8ELj2EiiDF16_DF16_ffEEvb20rocsparse_direction_T3_S2_llNS_24const_host_device_scalarIT7_EEPKT2_PKS2_PKT4_S2_PKT5_llS5_PT6_ll16rocsparse_order_21rocsparse_index_base_b
		.amdhsa_group_segment_fixed_size 768
		.amdhsa_private_segment_fixed_size 0
		.amdhsa_kernarg_size 140
		.amdhsa_user_sgpr_count 2
		.amdhsa_user_sgpr_dispatch_ptr 0
		.amdhsa_user_sgpr_queue_ptr 0
		.amdhsa_user_sgpr_kernarg_segment_ptr 1
		.amdhsa_user_sgpr_dispatch_id 0
		.amdhsa_user_sgpr_kernarg_preload_length 0
		.amdhsa_user_sgpr_kernarg_preload_offset 0
		.amdhsa_user_sgpr_private_segment_size 0
		.amdhsa_uses_dynamic_stack 0
		.amdhsa_enable_private_segment 0
		.amdhsa_system_sgpr_workgroup_id_x 1
		.amdhsa_system_sgpr_workgroup_id_y 1
		.amdhsa_system_sgpr_workgroup_id_z 0
		.amdhsa_system_sgpr_workgroup_info 0
		.amdhsa_system_vgpr_workitem_id 1
		.amdhsa_next_free_vgpr 26
		.amdhsa_next_free_sgpr 40
		.amdhsa_accum_offset 28
		.amdhsa_reserve_vcc 1
		.amdhsa_float_round_mode_32 0
		.amdhsa_float_round_mode_16_64 0
		.amdhsa_float_denorm_mode_32 3
		.amdhsa_float_denorm_mode_16_64 3
		.amdhsa_dx10_clamp 1
		.amdhsa_ieee_mode 1
		.amdhsa_fp16_overflow 0
		.amdhsa_tg_split 0
		.amdhsa_exception_fp_ieee_invalid_op 0
		.amdhsa_exception_fp_denorm_src 0
		.amdhsa_exception_fp_ieee_div_zero 0
		.amdhsa_exception_fp_ieee_overflow 0
		.amdhsa_exception_fp_ieee_underflow 0
		.amdhsa_exception_fp_ieee_inexact 0
		.amdhsa_exception_int_div_zero 0
	.end_amdhsa_kernel
	.section	.text._ZN9rocsparseL31bsrmm_large_blockdim_kernel_extILj8ELj8ELj2EiiDF16_DF16_ffEEvb20rocsparse_direction_T3_S2_llNS_24const_host_device_scalarIT7_EEPKT2_PKS2_PKT4_S2_PKT5_llS5_PT6_ll16rocsparse_order_21rocsparse_index_base_b,"axG",@progbits,_ZN9rocsparseL31bsrmm_large_blockdim_kernel_extILj8ELj8ELj2EiiDF16_DF16_ffEEvb20rocsparse_direction_T3_S2_llNS_24const_host_device_scalarIT7_EEPKT2_PKS2_PKT4_S2_PKT5_llS5_PT6_ll16rocsparse_order_21rocsparse_index_base_b,comdat
.Lfunc_end48:
	.size	_ZN9rocsparseL31bsrmm_large_blockdim_kernel_extILj8ELj8ELj2EiiDF16_DF16_ffEEvb20rocsparse_direction_T3_S2_llNS_24const_host_device_scalarIT7_EEPKT2_PKS2_PKT4_S2_PKT5_llS5_PT6_ll16rocsparse_order_21rocsparse_index_base_b, .Lfunc_end48-_ZN9rocsparseL31bsrmm_large_blockdim_kernel_extILj8ELj8ELj2EiiDF16_DF16_ffEEvb20rocsparse_direction_T3_S2_llNS_24const_host_device_scalarIT7_EEPKT2_PKS2_PKT4_S2_PKT5_llS5_PT6_ll16rocsparse_order_21rocsparse_index_base_b
                                        ; -- End function
	.set _ZN9rocsparseL31bsrmm_large_blockdim_kernel_extILj8ELj8ELj2EiiDF16_DF16_ffEEvb20rocsparse_direction_T3_S2_llNS_24const_host_device_scalarIT7_EEPKT2_PKS2_PKT4_S2_PKT5_llS5_PT6_ll16rocsparse_order_21rocsparse_index_base_b.num_vgpr, 26
	.set _ZN9rocsparseL31bsrmm_large_blockdim_kernel_extILj8ELj8ELj2EiiDF16_DF16_ffEEvb20rocsparse_direction_T3_S2_llNS_24const_host_device_scalarIT7_EEPKT2_PKS2_PKT4_S2_PKT5_llS5_PT6_ll16rocsparse_order_21rocsparse_index_base_b.num_agpr, 0
	.set _ZN9rocsparseL31bsrmm_large_blockdim_kernel_extILj8ELj8ELj2EiiDF16_DF16_ffEEvb20rocsparse_direction_T3_S2_llNS_24const_host_device_scalarIT7_EEPKT2_PKS2_PKT4_S2_PKT5_llS5_PT6_ll16rocsparse_order_21rocsparse_index_base_b.numbered_sgpr, 40
	.set _ZN9rocsparseL31bsrmm_large_blockdim_kernel_extILj8ELj8ELj2EiiDF16_DF16_ffEEvb20rocsparse_direction_T3_S2_llNS_24const_host_device_scalarIT7_EEPKT2_PKS2_PKT4_S2_PKT5_llS5_PT6_ll16rocsparse_order_21rocsparse_index_base_b.num_named_barrier, 0
	.set _ZN9rocsparseL31bsrmm_large_blockdim_kernel_extILj8ELj8ELj2EiiDF16_DF16_ffEEvb20rocsparse_direction_T3_S2_llNS_24const_host_device_scalarIT7_EEPKT2_PKS2_PKT4_S2_PKT5_llS5_PT6_ll16rocsparse_order_21rocsparse_index_base_b.private_seg_size, 0
	.set _ZN9rocsparseL31bsrmm_large_blockdim_kernel_extILj8ELj8ELj2EiiDF16_DF16_ffEEvb20rocsparse_direction_T3_S2_llNS_24const_host_device_scalarIT7_EEPKT2_PKS2_PKT4_S2_PKT5_llS5_PT6_ll16rocsparse_order_21rocsparse_index_base_b.uses_vcc, 1
	.set _ZN9rocsparseL31bsrmm_large_blockdim_kernel_extILj8ELj8ELj2EiiDF16_DF16_ffEEvb20rocsparse_direction_T3_S2_llNS_24const_host_device_scalarIT7_EEPKT2_PKS2_PKT4_S2_PKT5_llS5_PT6_ll16rocsparse_order_21rocsparse_index_base_b.uses_flat_scratch, 0
	.set _ZN9rocsparseL31bsrmm_large_blockdim_kernel_extILj8ELj8ELj2EiiDF16_DF16_ffEEvb20rocsparse_direction_T3_S2_llNS_24const_host_device_scalarIT7_EEPKT2_PKS2_PKT4_S2_PKT5_llS5_PT6_ll16rocsparse_order_21rocsparse_index_base_b.has_dyn_sized_stack, 0
	.set _ZN9rocsparseL31bsrmm_large_blockdim_kernel_extILj8ELj8ELj2EiiDF16_DF16_ffEEvb20rocsparse_direction_T3_S2_llNS_24const_host_device_scalarIT7_EEPKT2_PKS2_PKT4_S2_PKT5_llS5_PT6_ll16rocsparse_order_21rocsparse_index_base_b.has_recursion, 0
	.set _ZN9rocsparseL31bsrmm_large_blockdim_kernel_extILj8ELj8ELj2EiiDF16_DF16_ffEEvb20rocsparse_direction_T3_S2_llNS_24const_host_device_scalarIT7_EEPKT2_PKS2_PKT4_S2_PKT5_llS5_PT6_ll16rocsparse_order_21rocsparse_index_base_b.has_indirect_call, 0
	.section	.AMDGPU.csdata,"",@progbits
; Kernel info:
; codeLenInByte = 1628
; TotalNumSgprs: 46
; NumVgprs: 26
; NumAgprs: 0
; TotalNumVgprs: 26
; ScratchSize: 0
; MemoryBound: 0
; FloatMode: 240
; IeeeMode: 1
; LDSByteSize: 768 bytes/workgroup (compile time only)
; SGPRBlocks: 5
; VGPRBlocks: 3
; NumSGPRsForWavesPerEU: 46
; NumVGPRsForWavesPerEU: 26
; AccumOffset: 28
; Occupancy: 8
; WaveLimiterHint : 1
; COMPUTE_PGM_RSRC2:SCRATCH_EN: 0
; COMPUTE_PGM_RSRC2:USER_SGPR: 2
; COMPUTE_PGM_RSRC2:TRAP_HANDLER: 0
; COMPUTE_PGM_RSRC2:TGID_X_EN: 1
; COMPUTE_PGM_RSRC2:TGID_Y_EN: 1
; COMPUTE_PGM_RSRC2:TGID_Z_EN: 0
; COMPUTE_PGM_RSRC2:TIDIG_COMP_CNT: 1
; COMPUTE_PGM_RSRC3_GFX90A:ACCUM_OFFSET: 6
; COMPUTE_PGM_RSRC3_GFX90A:TG_SPLIT: 0
	.section	.text._ZN9rocsparseL31bsrmm_large_blockdim_kernel_extILj4ELj16ELj2EiiDF16_DF16_ffEEvb20rocsparse_direction_T3_S2_llNS_24const_host_device_scalarIT7_EEPKT2_PKS2_PKT4_S2_PKT5_llS5_PT6_ll16rocsparse_order_21rocsparse_index_base_b,"axG",@progbits,_ZN9rocsparseL31bsrmm_large_blockdim_kernel_extILj4ELj16ELj2EiiDF16_DF16_ffEEvb20rocsparse_direction_T3_S2_llNS_24const_host_device_scalarIT7_EEPKT2_PKS2_PKT4_S2_PKT5_llS5_PT6_ll16rocsparse_order_21rocsparse_index_base_b,comdat
	.globl	_ZN9rocsparseL31bsrmm_large_blockdim_kernel_extILj4ELj16ELj2EiiDF16_DF16_ffEEvb20rocsparse_direction_T3_S2_llNS_24const_host_device_scalarIT7_EEPKT2_PKS2_PKT4_S2_PKT5_llS5_PT6_ll16rocsparse_order_21rocsparse_index_base_b ; -- Begin function _ZN9rocsparseL31bsrmm_large_blockdim_kernel_extILj4ELj16ELj2EiiDF16_DF16_ffEEvb20rocsparse_direction_T3_S2_llNS_24const_host_device_scalarIT7_EEPKT2_PKS2_PKT4_S2_PKT5_llS5_PT6_ll16rocsparse_order_21rocsparse_index_base_b
	.p2align	8
	.type	_ZN9rocsparseL31bsrmm_large_blockdim_kernel_extILj4ELj16ELj2EiiDF16_DF16_ffEEvb20rocsparse_direction_T3_S2_llNS_24const_host_device_scalarIT7_EEPKT2_PKS2_PKT4_S2_PKT5_llS5_PT6_ll16rocsparse_order_21rocsparse_index_base_b,@function
_ZN9rocsparseL31bsrmm_large_blockdim_kernel_extILj4ELj16ELj2EiiDF16_DF16_ffEEvb20rocsparse_direction_T3_S2_llNS_24const_host_device_scalarIT7_EEPKT2_PKS2_PKT4_S2_PKT5_llS5_PT6_ll16rocsparse_order_21rocsparse_index_base_b: ; @_ZN9rocsparseL31bsrmm_large_blockdim_kernel_extILj4ELj16ELj2EiiDF16_DF16_ffEEvb20rocsparse_direction_T3_S2_llNS_24const_host_device_scalarIT7_EEPKT2_PKS2_PKT4_S2_PKT5_llS5_PT6_ll16rocsparse_order_21rocsparse_index_base_b
; %bb.0:
	s_load_dwordx4 s[16:19], s[0:1], 0x80
	s_mov_b32 s4, s3
	s_waitcnt lgkmcnt(0)
	s_bitcmp1_b32 s18, 0
	s_load_dwordx2 s[18:19], s[0:1], 0x20
	s_load_dwordx2 s[28:29], s[0:1], 0x60
	s_cselect_b64 s[8:9], -1, 0
	s_xor_b64 s[6:7], s[8:9], -1
	s_and_b64 vcc, exec, s[8:9]
	s_cbranch_vccnz .LBB49_2
; %bb.1:
	s_waitcnt lgkmcnt(0)
	s_load_dword s18, s[18:19], 0x0
.LBB49_2:
	s_andn2_b64 vcc, exec, s[6:7]
	s_cbranch_vccnz .LBB49_4
; %bb.3:
	s_waitcnt lgkmcnt(0)
	s_load_dword s28, s[28:29], 0x0
.LBB49_4:
	s_waitcnt lgkmcnt(0)
	v_cmp_eq_f32_e64 s[6:7], s18, 0
	v_cmp_eq_f32_e64 s[8:9], s28, 1.0
	s_and_b64 s[6:7], s[6:7], s[8:9]
	s_mov_b32 s34, 0
	s_and_b64 vcc, exec, s[6:7]
	s_cbranch_vccnz .LBB49_48
; %bb.5:
	s_load_dwordx4 s[12:15], s[0:1], 0x0
	s_load_dwordx2 s[6:7], s[0:1], 0x28
	s_waitcnt lgkmcnt(0)
	s_cmp_lt_i32 s2, s14
	s_cselect_b64 s[30:31], -1, 0
	s_cmp_ge_i32 s2, s14
	s_cbranch_scc1 .LBB49_7
; %bb.6:
	s_ashr_i32 s3, s2, 31
	s_lshl_b64 s[8:9], s[2:3], 2
	s_add_u32 s8, s6, s8
	s_addc_u32 s9, s7, s9
	s_load_dword s3, s[8:9], 0x0
	s_waitcnt lgkmcnt(0)
	s_sub_i32 s34, s3, s17
.LBB49_7:
	s_andn2_b64 vcc, exec, s[30:31]
	s_mov_b32 s14, 0
	s_cbranch_vccnz .LBB49_9
; %bb.8:
	s_ashr_i32 s3, s2, 31
	s_lshl_b64 s[8:9], s[2:3], 2
	s_add_u32 s6, s6, s8
	s_addc_u32 s7, s7, s9
	s_load_dword s3, s[6:7], 0x4
	s_waitcnt lgkmcnt(0)
	s_sub_i32 s14, s3, s17
.LBB49_9:
	s_load_dwordx2 s[36:37], s[0:1], 0x68
	s_load_dword s3, s[0:1], 0x40
	v_bfe_u32 v8, v0, 10, 10
	v_lshl_add_u32 v4, s4, 5, v8
	v_add_u32_e32 v2, 16, v4
	v_and_b32_e32 v6, 0x3ff, v0
	s_waitcnt lgkmcnt(0)
	v_cmp_gt_i32_e32 vcc, s3, v6
	s_cmp_ge_i32 s34, s14
	v_cmp_gt_i32_e64 s[4:5], s15, v4
	v_cmp_gt_i32_e64 s[6:7], s15, v2
	s_cbranch_scc1 .LBB49_27
; %bb.10:
	s_load_dwordx4 s[20:23], s[0:1], 0x30
	s_load_dwordx4 s[24:27], s[0:1], 0x48
	v_cmp_gt_i32_e64 s[8:9], s3, v8
	s_and_b64 s[38:39], vcc, s[8:9]
	v_mov_b32_e32 v0, 0x200
	v_lshlrev_b32_e32 v7, 4, v8
	s_bitcmp1_b32 s12, 0
	v_lshl_add_u32 v14, v8, 2, v0
	v_mad_u64_u32 v[0:1], s[10:11], s3, v8, v[6:7]
	v_ashrrev_i32_e32 v5, 31, v4
	s_cselect_b64 s[8:9], -1, 0
	s_cmp_eq_u32 s13, 0
	v_mad_u64_u32 v[12:13], s[10:11], s3, v6, v[8:9]
	s_waitcnt lgkmcnt(0)
	v_mul_lo_u32 v1, s27, v4
	v_mul_lo_u32 v3, s26, v5
	v_mad_u64_u32 v[8:9], s[10:11], s26, v4, 0
	v_mad_u64_u32 v[10:11], s[10:11], s26, v2, 0
	v_add3_u32 v9, v9, v3, v1
	v_ashrrev_i32_e32 v3, 31, v2
	s_cselect_b64 s[10:11], -1, 0
	v_lshlrev_b32_e32 v15, 2, v6
	v_lshlrev_b32_e32 v20, 4, v6
	v_mul_lo_u32 v1, s27, v2
	v_mul_lo_u32 v13, s26, v3
	v_cndmask_b32_e64 v16, v0, v12, s[10:11]
	v_mov_b32_e32 v0, 0
	s_mul_i32 s19, s3, s3
	v_add3_u32 v11, v11, v13, v1
	v_add_u32_e32 v17, 0x200, v20
	v_add_u32_e32 v18, 0x100, v7
	v_mov_b32_e32 v1, v0
	v_add_u32_e32 v19, v15, v7
	v_add_u32_e32 v20, v14, v20
	s_branch .LBB49_13
.LBB49_11:                              ;   in Loop: Header=BB49_13 Depth=1
	s_or_b64 exec, exec, s[12:13]
.LBB49_12:                              ;   in Loop: Header=BB49_13 Depth=1
	s_or_b64 exec, exec, s[10:11]
	s_add_i32 s34, s34, 1
	s_cmp_ge_i32 s34, s14
	; wave barrier
	s_cbranch_scc1 .LBB49_28
.LBB49_13:                              ; =>This Loop Header: Depth=1
                                        ;     Child Loop BB49_23 Depth 2
                                        ;     Child Loop BB49_26 Depth 2
	s_and_saveexec_b64 s[10:11], vcc
	s_cbranch_execz .LBB49_18
; %bb.14:                               ;   in Loop: Header=BB49_13 Depth=1
	s_ashr_i32 s35, s34, 31
	s_lshl_b64 s[12:13], s[34:35], 2
	s_add_u32 s12, s20, s12
	s_addc_u32 s13, s21, s13
	s_load_dword s12, s[12:13], 0x0
	s_waitcnt lgkmcnt(0)
	s_sub_i32 s12, s12, s17
	s_mul_i32 s12, s12, s3
	v_add_u32_e32 v14, s12, v6
	v_ashrrev_i32_e32 v15, 31, v14
	v_mul_lo_u32 v21, s27, v14
	v_mad_u64_u32 v[12:13], s[12:13], s26, v14, 0
	v_mul_lo_u32 v22, s26, v15
	v_add3_u32 v13, v13, v22, v21
	v_lshl_add_u64 v[12:13], v[12:13], 1, s[24:25]
	v_lshl_add_u64 v[14:15], v[14:15], 1, s[24:25]
	s_and_saveexec_b64 s[12:13], s[4:5]
	s_cbranch_execz .LBB49_16
; %bb.15:                               ;   in Loop: Header=BB49_13 Depth=1
	v_lshl_add_u64 v[22:23], v[4:5], 1, v[12:13]
	v_lshl_add_u64 v[24:25], v[8:9], 1, v[14:15]
	v_cndmask_b32_e64 v23, v23, v25, s[8:9]
	v_cndmask_b32_e64 v22, v22, v24, s[8:9]
	global_load_ushort v21, v[22:23], off
	s_waitcnt vmcnt(0)
	v_cvt_f32_f16_e32 v21, v21
	ds_write_b32 v19, v21
.LBB49_16:                              ;   in Loop: Header=BB49_13 Depth=1
	s_or_b64 exec, exec, s[12:13]
	s_and_b64 exec, exec, s[6:7]
	s_cbranch_execz .LBB49_18
; %bb.17:                               ;   in Loop: Header=BB49_13 Depth=1
	v_lshl_add_u64 v[14:15], v[10:11], 1, v[14:15]
	v_lshl_add_u64 v[12:13], v[2:3], 1, v[12:13]
	v_cndmask_b32_e64 v13, v13, v15, s[8:9]
	v_cndmask_b32_e64 v12, v12, v14, s[8:9]
	global_load_ushort v12, v[12:13], off
	s_waitcnt vmcnt(0)
	v_cvt_f32_f16_e32 v12, v12
	ds_write_b32 v19, v12 offset:256
.LBB49_18:                              ;   in Loop: Header=BB49_13 Depth=1
	s_or_b64 exec, exec, s[10:11]
	s_and_saveexec_b64 s[10:11], s[38:39]
	s_cbranch_execz .LBB49_20
; %bb.19:                               ;   in Loop: Header=BB49_13 Depth=1
	s_mul_i32 s12, s19, s34
	v_add_u32_e32 v12, s12, v16
	v_ashrrev_i32_e32 v13, 31, v12
	v_lshl_add_u64 v[12:13], v[12:13], 1, s[22:23]
	global_load_ushort v12, v[12:13], off
	s_waitcnt vmcnt(0)
	v_cvt_f32_f16_e32 v12, v12
	ds_write_b32 v20, v12
.LBB49_20:                              ;   in Loop: Header=BB49_13 Depth=1
	s_or_b64 exec, exec, s[10:11]
	s_waitcnt lgkmcnt(0)
	; wave barrier
	s_and_saveexec_b64 s[10:11], vcc
	s_cbranch_execz .LBB49_12
; %bb.21:                               ;   in Loop: Header=BB49_13 Depth=1
	s_and_saveexec_b64 s[12:13], s[4:5]
	s_cbranch_execz .LBB49_24
; %bb.22:                               ;   in Loop: Header=BB49_13 Depth=1
	v_mov_b32_e32 v12, v17
	v_mov_b32_e32 v13, v7
	s_mov_b32 s29, s3
.LBB49_23:                              ;   Parent Loop BB49_13 Depth=1
                                        ; =>  This Inner Loop Header: Depth=2
	ds_read_b32 v14, v12
	ds_read_b32 v15, v13
	s_add_i32 s29, s29, -1
	v_add_u32_e32 v13, 4, v13
	v_add_u32_e32 v12, 4, v12
	s_cmp_lg_u32 s29, 0
	s_waitcnt lgkmcnt(0)
	v_fma_f32 v0, v14, v15, v0
	s_cbranch_scc1 .LBB49_23
.LBB49_24:                              ;   in Loop: Header=BB49_13 Depth=1
	s_or_b64 exec, exec, s[12:13]
	s_and_saveexec_b64 s[12:13], s[6:7]
	s_cbranch_execz .LBB49_11
; %bb.25:                               ;   in Loop: Header=BB49_13 Depth=1
	v_mov_b32_e32 v12, v17
	s_mov_b32 s29, s3
	v_mov_b32_e32 v13, v18
.LBB49_26:                              ;   Parent Loop BB49_13 Depth=1
                                        ; =>  This Inner Loop Header: Depth=2
	ds_read_b32 v14, v12
	ds_read_b32 v15, v13
	s_add_i32 s29, s29, -1
	v_add_u32_e32 v13, 4, v13
	v_add_u32_e32 v12, 4, v12
	s_cmp_lg_u32 s29, 0
	s_waitcnt lgkmcnt(0)
	v_fma_f32 v1, v14, v15, v1
	s_cbranch_scc1 .LBB49_26
	s_branch .LBB49_11
.LBB49_27:
	v_mov_b32_e32 v0, 0
	v_mov_b32_e32 v1, v0
.LBB49_28:
	s_and_b64 s[4:5], s[30:31], vcc
	s_and_saveexec_b64 s[6:7], s[4:5]
	s_cbranch_execz .LBB49_48
; %bb.29:
	s_mul_i32 s2, s3, s2
	v_add_u32_e32 v6, s2, v6
	s_load_dwordx2 s[2:3], s[0:1], 0x70
	v_ashrrev_i32_e32 v7, 31, v6
	s_cmp_lg_u32 s16, 1
	v_cmp_neq_f32_e64 s[0:1], s28, 0
	s_cselect_b64 s[4:5], -1, 0
	s_waitcnt lgkmcnt(0)
	v_mul_lo_u32 v3, s2, v7
	v_mul_lo_u32 v5, s3, v6
	v_mad_u64_u32 v[8:9], s[6:7], s2, v6, 0
	v_add3_u32 v9, v9, v3, v5
	v_lshl_add_u64 v[8:9], v[8:9], 2, s[36:37]
	v_lshl_add_u64 v[6:7], v[6:7], 2, s[36:37]
	v_cmp_gt_i32_e32 vcc, s15, v4
	s_and_saveexec_b64 s[6:7], vcc
	s_cbranch_execz .LBB49_41
; %bb.30:
	s_and_b64 vcc, exec, s[0:1]
	v_ashrrev_i32_e32 v5, 31, v4
	s_mov_b64 s[8:9], -1
	s_cbranch_vccz .LBB49_36
; %bb.31:
	s_and_b64 vcc, exec, s[4:5]
	s_cbranch_vccz .LBB49_33
; %bb.32:
	v_lshl_add_u64 v[10:11], v[4:5], 2, v[8:9]
	global_load_dword v3, v[10:11], off
	v_mul_f32_e32 v12, s18, v0
	s_mov_b64 s[8:9], 0
	s_waitcnt vmcnt(0)
	v_fmac_f32_e32 v12, s28, v3
	global_store_dword v[10:11], v12, off
.LBB49_33:
	s_andn2_b64 vcc, exec, s[8:9]
	s_cbranch_vccnz .LBB49_35
; %bb.34:
	v_mul_lo_u32 v3, s3, v4
	v_mul_lo_u32 v12, s2, v5
	v_mad_u64_u32 v[10:11], s[8:9], s2, v4, 0
	v_add3_u32 v11, v11, v12, v3
	v_lshl_add_u64 v[10:11], v[10:11], 2, v[6:7]
	global_load_dword v3, v[10:11], off
	v_mul_f32_e32 v12, s18, v0
	s_waitcnt vmcnt(0)
	v_fmac_f32_e32 v12, s28, v3
	global_store_dword v[10:11], v12, off
.LBB49_35:
	s_mov_b64 s[8:9], 0
.LBB49_36:
	s_andn2_b64 vcc, exec, s[8:9]
	s_cbranch_vccnz .LBB49_41
; %bb.37:
	v_mul_f32_e32 v0, s18, v0
	s_mov_b64 s[8:9], -1
	s_and_b64 vcc, exec, s[4:5]
	s_cbranch_vccz .LBB49_39
; %bb.38:
	v_lshl_add_u64 v[10:11], v[4:5], 2, v[8:9]
	global_store_dword v[10:11], v0, off
	s_mov_b64 s[8:9], 0
.LBB49_39:
	s_andn2_b64 vcc, exec, s[8:9]
	s_cbranch_vccnz .LBB49_41
; %bb.40:
	v_mul_lo_u32 v3, s3, v4
	v_mul_lo_u32 v10, s2, v5
	v_mad_u64_u32 v[4:5], s[8:9], s2, v4, 0
	v_add3_u32 v5, v5, v10, v3
	v_lshl_add_u64 v[4:5], v[4:5], 2, v[6:7]
	global_store_dword v[4:5], v0, off
.LBB49_41:
	s_or_b64 exec, exec, s[6:7]
	v_cmp_gt_i32_e32 vcc, s15, v2
	s_and_b64 exec, exec, vcc
	s_cbranch_execz .LBB49_48
; %bb.42:
	v_cndmask_b32_e64 v0, 0, 1, s[4:5]
	s_andn2_b64 vcc, exec, s[0:1]
	v_ashrrev_i32_e32 v3, 31, v2
	v_cmp_ne_u32_e64 s[0:1], 1, v0
	s_cbranch_vccnz .LBB49_49
; %bb.43:
	s_and_b64 vcc, exec, s[0:1]
	s_mov_b64 s[4:5], -1
	s_cbranch_vccnz .LBB49_45
; %bb.44:
	v_lshl_add_u64 v[4:5], v[2:3], 2, v[8:9]
	global_load_dword v0, v[4:5], off
	v_mul_f32_e32 v10, s18, v1
	s_mov_b64 s[4:5], 0
	s_waitcnt vmcnt(0)
	v_fmac_f32_e32 v10, s28, v0
	global_store_dword v[4:5], v10, off
.LBB49_45:
	s_andn2_b64 vcc, exec, s[4:5]
	s_cbranch_vccnz .LBB49_47
; %bb.46:
	v_mul_lo_u32 v0, s3, v2
	v_mul_lo_u32 v10, s2, v3
	v_mad_u64_u32 v[4:5], s[4:5], s2, v2, 0
	v_add3_u32 v5, v5, v10, v0
	v_lshl_add_u64 v[4:5], v[4:5], 2, v[6:7]
	global_load_dword v0, v[4:5], off
	v_mul_f32_e32 v10, s18, v1
	s_waitcnt vmcnt(0)
	v_fmac_f32_e32 v10, s28, v0
	global_store_dword v[4:5], v10, off
.LBB49_47:
	s_cbranch_execz .LBB49_50
.LBB49_48:
	s_endpgm
.LBB49_49:
.LBB49_50:
	v_mul_f32_e32 v0, s18, v1
	s_and_b64 vcc, exec, s[0:1]
	s_mov_b64 s[0:1], -1
	s_cbranch_vccnz .LBB49_52
; %bb.51:
	v_lshl_add_u64 v[4:5], v[2:3], 2, v[8:9]
	s_mov_b64 s[0:1], 0
	global_store_dword v[4:5], v0, off
.LBB49_52:
	s_andn2_b64 vcc, exec, s[0:1]
	s_cbranch_vccnz .LBB49_48
; %bb.53:
	v_mul_lo_u32 v1, s3, v2
	v_mul_lo_u32 v4, s2, v3
	v_mad_u64_u32 v[2:3], s[0:1], s2, v2, 0
	v_add3_u32 v3, v3, v4, v1
	v_lshl_add_u64 v[2:3], v[2:3], 2, v[6:7]
	global_store_dword v[2:3], v0, off
	s_endpgm
	.section	.rodata,"a",@progbits
	.p2align	6, 0x0
	.amdhsa_kernel _ZN9rocsparseL31bsrmm_large_blockdim_kernel_extILj4ELj16ELj2EiiDF16_DF16_ffEEvb20rocsparse_direction_T3_S2_llNS_24const_host_device_scalarIT7_EEPKT2_PKS2_PKT4_S2_PKT5_llS5_PT6_ll16rocsparse_order_21rocsparse_index_base_b
		.amdhsa_group_segment_fixed_size 576
		.amdhsa_private_segment_fixed_size 0
		.amdhsa_kernarg_size 140
		.amdhsa_user_sgpr_count 2
		.amdhsa_user_sgpr_dispatch_ptr 0
		.amdhsa_user_sgpr_queue_ptr 0
		.amdhsa_user_sgpr_kernarg_segment_ptr 1
		.amdhsa_user_sgpr_dispatch_id 0
		.amdhsa_user_sgpr_kernarg_preload_length 0
		.amdhsa_user_sgpr_kernarg_preload_offset 0
		.amdhsa_user_sgpr_private_segment_size 0
		.amdhsa_uses_dynamic_stack 0
		.amdhsa_enable_private_segment 0
		.amdhsa_system_sgpr_workgroup_id_x 1
		.amdhsa_system_sgpr_workgroup_id_y 1
		.amdhsa_system_sgpr_workgroup_id_z 0
		.amdhsa_system_sgpr_workgroup_info 0
		.amdhsa_system_vgpr_workitem_id 1
		.amdhsa_next_free_vgpr 26
		.amdhsa_next_free_sgpr 40
		.amdhsa_accum_offset 28
		.amdhsa_reserve_vcc 1
		.amdhsa_float_round_mode_32 0
		.amdhsa_float_round_mode_16_64 0
		.amdhsa_float_denorm_mode_32 3
		.amdhsa_float_denorm_mode_16_64 3
		.amdhsa_dx10_clamp 1
		.amdhsa_ieee_mode 1
		.amdhsa_fp16_overflow 0
		.amdhsa_tg_split 0
		.amdhsa_exception_fp_ieee_invalid_op 0
		.amdhsa_exception_fp_denorm_src 0
		.amdhsa_exception_fp_ieee_div_zero 0
		.amdhsa_exception_fp_ieee_overflow 0
		.amdhsa_exception_fp_ieee_underflow 0
		.amdhsa_exception_fp_ieee_inexact 0
		.amdhsa_exception_int_div_zero 0
	.end_amdhsa_kernel
	.section	.text._ZN9rocsparseL31bsrmm_large_blockdim_kernel_extILj4ELj16ELj2EiiDF16_DF16_ffEEvb20rocsparse_direction_T3_S2_llNS_24const_host_device_scalarIT7_EEPKT2_PKS2_PKT4_S2_PKT5_llS5_PT6_ll16rocsparse_order_21rocsparse_index_base_b,"axG",@progbits,_ZN9rocsparseL31bsrmm_large_blockdim_kernel_extILj4ELj16ELj2EiiDF16_DF16_ffEEvb20rocsparse_direction_T3_S2_llNS_24const_host_device_scalarIT7_EEPKT2_PKS2_PKT4_S2_PKT5_llS5_PT6_ll16rocsparse_order_21rocsparse_index_base_b,comdat
.Lfunc_end49:
	.size	_ZN9rocsparseL31bsrmm_large_blockdim_kernel_extILj4ELj16ELj2EiiDF16_DF16_ffEEvb20rocsparse_direction_T3_S2_llNS_24const_host_device_scalarIT7_EEPKT2_PKS2_PKT4_S2_PKT5_llS5_PT6_ll16rocsparse_order_21rocsparse_index_base_b, .Lfunc_end49-_ZN9rocsparseL31bsrmm_large_blockdim_kernel_extILj4ELj16ELj2EiiDF16_DF16_ffEEvb20rocsparse_direction_T3_S2_llNS_24const_host_device_scalarIT7_EEPKT2_PKS2_PKT4_S2_PKT5_llS5_PT6_ll16rocsparse_order_21rocsparse_index_base_b
                                        ; -- End function
	.set _ZN9rocsparseL31bsrmm_large_blockdim_kernel_extILj4ELj16ELj2EiiDF16_DF16_ffEEvb20rocsparse_direction_T3_S2_llNS_24const_host_device_scalarIT7_EEPKT2_PKS2_PKT4_S2_PKT5_llS5_PT6_ll16rocsparse_order_21rocsparse_index_base_b.num_vgpr, 26
	.set _ZN9rocsparseL31bsrmm_large_blockdim_kernel_extILj4ELj16ELj2EiiDF16_DF16_ffEEvb20rocsparse_direction_T3_S2_llNS_24const_host_device_scalarIT7_EEPKT2_PKS2_PKT4_S2_PKT5_llS5_PT6_ll16rocsparse_order_21rocsparse_index_base_b.num_agpr, 0
	.set _ZN9rocsparseL31bsrmm_large_blockdim_kernel_extILj4ELj16ELj2EiiDF16_DF16_ffEEvb20rocsparse_direction_T3_S2_llNS_24const_host_device_scalarIT7_EEPKT2_PKS2_PKT4_S2_PKT5_llS5_PT6_ll16rocsparse_order_21rocsparse_index_base_b.numbered_sgpr, 40
	.set _ZN9rocsparseL31bsrmm_large_blockdim_kernel_extILj4ELj16ELj2EiiDF16_DF16_ffEEvb20rocsparse_direction_T3_S2_llNS_24const_host_device_scalarIT7_EEPKT2_PKS2_PKT4_S2_PKT5_llS5_PT6_ll16rocsparse_order_21rocsparse_index_base_b.num_named_barrier, 0
	.set _ZN9rocsparseL31bsrmm_large_blockdim_kernel_extILj4ELj16ELj2EiiDF16_DF16_ffEEvb20rocsparse_direction_T3_S2_llNS_24const_host_device_scalarIT7_EEPKT2_PKS2_PKT4_S2_PKT5_llS5_PT6_ll16rocsparse_order_21rocsparse_index_base_b.private_seg_size, 0
	.set _ZN9rocsparseL31bsrmm_large_blockdim_kernel_extILj4ELj16ELj2EiiDF16_DF16_ffEEvb20rocsparse_direction_T3_S2_llNS_24const_host_device_scalarIT7_EEPKT2_PKS2_PKT4_S2_PKT5_llS5_PT6_ll16rocsparse_order_21rocsparse_index_base_b.uses_vcc, 1
	.set _ZN9rocsparseL31bsrmm_large_blockdim_kernel_extILj4ELj16ELj2EiiDF16_DF16_ffEEvb20rocsparse_direction_T3_S2_llNS_24const_host_device_scalarIT7_EEPKT2_PKS2_PKT4_S2_PKT5_llS5_PT6_ll16rocsparse_order_21rocsparse_index_base_b.uses_flat_scratch, 0
	.set _ZN9rocsparseL31bsrmm_large_blockdim_kernel_extILj4ELj16ELj2EiiDF16_DF16_ffEEvb20rocsparse_direction_T3_S2_llNS_24const_host_device_scalarIT7_EEPKT2_PKS2_PKT4_S2_PKT5_llS5_PT6_ll16rocsparse_order_21rocsparse_index_base_b.has_dyn_sized_stack, 0
	.set _ZN9rocsparseL31bsrmm_large_blockdim_kernel_extILj4ELj16ELj2EiiDF16_DF16_ffEEvb20rocsparse_direction_T3_S2_llNS_24const_host_device_scalarIT7_EEPKT2_PKS2_PKT4_S2_PKT5_llS5_PT6_ll16rocsparse_order_21rocsparse_index_base_b.has_recursion, 0
	.set _ZN9rocsparseL31bsrmm_large_blockdim_kernel_extILj4ELj16ELj2EiiDF16_DF16_ffEEvb20rocsparse_direction_T3_S2_llNS_24const_host_device_scalarIT7_EEPKT2_PKS2_PKT4_S2_PKT5_llS5_PT6_ll16rocsparse_order_21rocsparse_index_base_b.has_indirect_call, 0
	.section	.AMDGPU.csdata,"",@progbits
; Kernel info:
; codeLenInByte = 1628
; TotalNumSgprs: 46
; NumVgprs: 26
; NumAgprs: 0
; TotalNumVgprs: 26
; ScratchSize: 0
; MemoryBound: 0
; FloatMode: 240
; IeeeMode: 1
; LDSByteSize: 576 bytes/workgroup (compile time only)
; SGPRBlocks: 5
; VGPRBlocks: 3
; NumSGPRsForWavesPerEU: 46
; NumVGPRsForWavesPerEU: 26
; AccumOffset: 28
; Occupancy: 8
; WaveLimiterHint : 1
; COMPUTE_PGM_RSRC2:SCRATCH_EN: 0
; COMPUTE_PGM_RSRC2:USER_SGPR: 2
; COMPUTE_PGM_RSRC2:TRAP_HANDLER: 0
; COMPUTE_PGM_RSRC2:TGID_X_EN: 1
; COMPUTE_PGM_RSRC2:TGID_Y_EN: 1
; COMPUTE_PGM_RSRC2:TGID_Z_EN: 0
; COMPUTE_PGM_RSRC2:TIDIG_COMP_CNT: 1
; COMPUTE_PGM_RSRC3_GFX90A:ACCUM_OFFSET: 6
; COMPUTE_PGM_RSRC3_GFX90A:TG_SPLIT: 0
	.section	.text._ZN9rocsparseL31bsrmm_large_blockdim_kernel_extILj16ELj16ELj2EiiDF16_DF16_ffEEvb20rocsparse_direction_T3_S2_llNS_24const_host_device_scalarIT7_EEPKT2_PKS2_PKT4_S2_PKT5_llS5_PT6_ll16rocsparse_order_21rocsparse_index_base_b,"axG",@progbits,_ZN9rocsparseL31bsrmm_large_blockdim_kernel_extILj16ELj16ELj2EiiDF16_DF16_ffEEvb20rocsparse_direction_T3_S2_llNS_24const_host_device_scalarIT7_EEPKT2_PKS2_PKT4_S2_PKT5_llS5_PT6_ll16rocsparse_order_21rocsparse_index_base_b,comdat
	.globl	_ZN9rocsparseL31bsrmm_large_blockdim_kernel_extILj16ELj16ELj2EiiDF16_DF16_ffEEvb20rocsparse_direction_T3_S2_llNS_24const_host_device_scalarIT7_EEPKT2_PKS2_PKT4_S2_PKT5_llS5_PT6_ll16rocsparse_order_21rocsparse_index_base_b ; -- Begin function _ZN9rocsparseL31bsrmm_large_blockdim_kernel_extILj16ELj16ELj2EiiDF16_DF16_ffEEvb20rocsparse_direction_T3_S2_llNS_24const_host_device_scalarIT7_EEPKT2_PKS2_PKT4_S2_PKT5_llS5_PT6_ll16rocsparse_order_21rocsparse_index_base_b
	.p2align	8
	.type	_ZN9rocsparseL31bsrmm_large_blockdim_kernel_extILj16ELj16ELj2EiiDF16_DF16_ffEEvb20rocsparse_direction_T3_S2_llNS_24const_host_device_scalarIT7_EEPKT2_PKS2_PKT4_S2_PKT5_llS5_PT6_ll16rocsparse_order_21rocsparse_index_base_b,@function
_ZN9rocsparseL31bsrmm_large_blockdim_kernel_extILj16ELj16ELj2EiiDF16_DF16_ffEEvb20rocsparse_direction_T3_S2_llNS_24const_host_device_scalarIT7_EEPKT2_PKS2_PKT4_S2_PKT5_llS5_PT6_ll16rocsparse_order_21rocsparse_index_base_b: ; @_ZN9rocsparseL31bsrmm_large_blockdim_kernel_extILj16ELj16ELj2EiiDF16_DF16_ffEEvb20rocsparse_direction_T3_S2_llNS_24const_host_device_scalarIT7_EEPKT2_PKS2_PKT4_S2_PKT5_llS5_PT6_ll16rocsparse_order_21rocsparse_index_base_b
; %bb.0:
	s_load_dwordx4 s[16:19], s[0:1], 0x80
	s_mov_b32 s4, s3
	s_waitcnt lgkmcnt(0)
	s_bitcmp1_b32 s18, 0
	s_load_dwordx2 s[18:19], s[0:1], 0x20
	s_load_dwordx2 s[28:29], s[0:1], 0x60
	s_cselect_b64 s[8:9], -1, 0
	s_xor_b64 s[6:7], s[8:9], -1
	s_and_b64 vcc, exec, s[8:9]
	s_cbranch_vccnz .LBB50_2
; %bb.1:
	s_waitcnt lgkmcnt(0)
	s_load_dword s18, s[18:19], 0x0
.LBB50_2:
	s_andn2_b64 vcc, exec, s[6:7]
	s_cbranch_vccnz .LBB50_4
; %bb.3:
	s_waitcnt lgkmcnt(0)
	s_load_dword s28, s[28:29], 0x0
.LBB50_4:
	s_waitcnt lgkmcnt(0)
	v_cmp_eq_f32_e64 s[6:7], s18, 0
	v_cmp_eq_f32_e64 s[8:9], s28, 1.0
	s_and_b64 s[6:7], s[6:7], s[8:9]
	s_mov_b32 s34, 0
	s_and_b64 vcc, exec, s[6:7]
	s_cbranch_vccnz .LBB50_48
; %bb.5:
	s_load_dwordx4 s[12:15], s[0:1], 0x0
	s_load_dwordx2 s[6:7], s[0:1], 0x28
	s_waitcnt lgkmcnt(0)
	s_cmp_lt_i32 s2, s14
	s_cselect_b64 s[30:31], -1, 0
	s_cmp_ge_i32 s2, s14
	s_cbranch_scc1 .LBB50_7
; %bb.6:
	s_ashr_i32 s3, s2, 31
	s_lshl_b64 s[8:9], s[2:3], 2
	s_add_u32 s8, s6, s8
	s_addc_u32 s9, s7, s9
	s_load_dword s3, s[8:9], 0x0
	s_waitcnt lgkmcnt(0)
	s_sub_i32 s34, s3, s17
.LBB50_7:
	s_andn2_b64 vcc, exec, s[30:31]
	s_mov_b32 s14, 0
	s_cbranch_vccnz .LBB50_9
; %bb.8:
	s_ashr_i32 s3, s2, 31
	s_lshl_b64 s[8:9], s[2:3], 2
	s_add_u32 s6, s6, s8
	s_addc_u32 s7, s7, s9
	s_load_dword s3, s[6:7], 0x4
	s_waitcnt lgkmcnt(0)
	s_sub_i32 s14, s3, s17
.LBB50_9:
	s_load_dwordx2 s[36:37], s[0:1], 0x68
	s_load_dword s3, s[0:1], 0x40
	v_bfe_u32 v8, v0, 10, 10
	v_lshl_add_u32 v4, s4, 5, v8
	v_add_u32_e32 v2, 16, v4
	v_and_b32_e32 v6, 0x3ff, v0
	s_waitcnt lgkmcnt(0)
	v_cmp_gt_i32_e32 vcc, s3, v6
	s_cmp_ge_i32 s34, s14
	v_cmp_gt_i32_e64 s[4:5], s15, v4
	v_cmp_gt_i32_e64 s[6:7], s15, v2
	s_cbranch_scc1 .LBB50_27
; %bb.10:
	s_load_dwordx4 s[20:23], s[0:1], 0x30
	s_load_dwordx4 s[24:27], s[0:1], 0x48
	v_cmp_gt_i32_e64 s[8:9], s3, v8
	s_and_b64 s[38:39], vcc, s[8:9]
	v_mov_b32_e32 v0, 0x800
	v_lshlrev_b32_e32 v7, 6, v8
	s_bitcmp1_b32 s12, 0
	v_lshl_add_u32 v14, v8, 2, v0
	v_mad_u64_u32 v[0:1], s[10:11], s3, v8, v[6:7]
	v_ashrrev_i32_e32 v5, 31, v4
	s_cselect_b64 s[8:9], -1, 0
	s_cmp_eq_u32 s13, 0
	v_mad_u64_u32 v[12:13], s[10:11], s3, v6, v[8:9]
	s_waitcnt lgkmcnt(0)
	v_mul_lo_u32 v1, s27, v4
	v_mul_lo_u32 v3, s26, v5
	v_mad_u64_u32 v[8:9], s[10:11], s26, v4, 0
	v_mad_u64_u32 v[10:11], s[10:11], s26, v2, 0
	v_add3_u32 v9, v9, v3, v1
	v_ashrrev_i32_e32 v3, 31, v2
	s_cselect_b64 s[10:11], -1, 0
	v_lshlrev_b32_e32 v15, 2, v6
	v_lshlrev_b32_e32 v20, 6, v6
	v_mul_lo_u32 v1, s27, v2
	v_mul_lo_u32 v13, s26, v3
	v_cndmask_b32_e64 v16, v0, v12, s[10:11]
	v_mov_b32_e32 v0, 0
	s_mul_i32 s19, s3, s3
	v_add3_u32 v11, v11, v13, v1
	v_add_u32_e32 v17, 0x800, v20
	v_add_u32_e32 v18, 0x400, v7
	v_mov_b32_e32 v1, v0
	v_add_u32_e32 v19, v15, v7
	v_add_u32_e32 v20, v14, v20
	s_branch .LBB50_13
.LBB50_11:                              ;   in Loop: Header=BB50_13 Depth=1
	s_or_b64 exec, exec, s[12:13]
.LBB50_12:                              ;   in Loop: Header=BB50_13 Depth=1
	s_or_b64 exec, exec, s[10:11]
	s_add_i32 s34, s34, 1
	s_cmp_ge_i32 s34, s14
	s_barrier
	s_cbranch_scc1 .LBB50_28
.LBB50_13:                              ; =>This Loop Header: Depth=1
                                        ;     Child Loop BB50_23 Depth 2
                                        ;     Child Loop BB50_26 Depth 2
	s_and_saveexec_b64 s[10:11], vcc
	s_cbranch_execz .LBB50_18
; %bb.14:                               ;   in Loop: Header=BB50_13 Depth=1
	s_ashr_i32 s35, s34, 31
	s_lshl_b64 s[12:13], s[34:35], 2
	s_add_u32 s12, s20, s12
	s_addc_u32 s13, s21, s13
	s_load_dword s12, s[12:13], 0x0
	s_waitcnt lgkmcnt(0)
	s_sub_i32 s12, s12, s17
	s_mul_i32 s12, s12, s3
	v_add_u32_e32 v14, s12, v6
	v_ashrrev_i32_e32 v15, 31, v14
	v_mul_lo_u32 v21, s27, v14
	v_mad_u64_u32 v[12:13], s[12:13], s26, v14, 0
	v_mul_lo_u32 v22, s26, v15
	v_add3_u32 v13, v13, v22, v21
	v_lshl_add_u64 v[12:13], v[12:13], 1, s[24:25]
	v_lshl_add_u64 v[14:15], v[14:15], 1, s[24:25]
	s_and_saveexec_b64 s[12:13], s[4:5]
	s_cbranch_execz .LBB50_16
; %bb.15:                               ;   in Loop: Header=BB50_13 Depth=1
	v_lshl_add_u64 v[22:23], v[4:5], 1, v[12:13]
	v_lshl_add_u64 v[24:25], v[8:9], 1, v[14:15]
	v_cndmask_b32_e64 v23, v23, v25, s[8:9]
	v_cndmask_b32_e64 v22, v22, v24, s[8:9]
	global_load_ushort v21, v[22:23], off
	s_waitcnt vmcnt(0)
	v_cvt_f32_f16_e32 v21, v21
	ds_write_b32 v19, v21
.LBB50_16:                              ;   in Loop: Header=BB50_13 Depth=1
	s_or_b64 exec, exec, s[12:13]
	s_and_b64 exec, exec, s[6:7]
	s_cbranch_execz .LBB50_18
; %bb.17:                               ;   in Loop: Header=BB50_13 Depth=1
	v_lshl_add_u64 v[14:15], v[10:11], 1, v[14:15]
	v_lshl_add_u64 v[12:13], v[2:3], 1, v[12:13]
	v_cndmask_b32_e64 v13, v13, v15, s[8:9]
	v_cndmask_b32_e64 v12, v12, v14, s[8:9]
	global_load_ushort v12, v[12:13], off
	s_waitcnt vmcnt(0)
	v_cvt_f32_f16_e32 v12, v12
	ds_write_b32 v19, v12 offset:1024
.LBB50_18:                              ;   in Loop: Header=BB50_13 Depth=1
	s_or_b64 exec, exec, s[10:11]
	s_and_saveexec_b64 s[10:11], s[38:39]
	s_cbranch_execz .LBB50_20
; %bb.19:                               ;   in Loop: Header=BB50_13 Depth=1
	s_mul_i32 s12, s19, s34
	v_add_u32_e32 v12, s12, v16
	v_ashrrev_i32_e32 v13, 31, v12
	v_lshl_add_u64 v[12:13], v[12:13], 1, s[22:23]
	global_load_ushort v12, v[12:13], off
	s_waitcnt vmcnt(0)
	v_cvt_f32_f16_e32 v12, v12
	ds_write_b32 v20, v12
.LBB50_20:                              ;   in Loop: Header=BB50_13 Depth=1
	s_or_b64 exec, exec, s[10:11]
	s_waitcnt lgkmcnt(0)
	s_barrier
	s_and_saveexec_b64 s[10:11], vcc
	s_cbranch_execz .LBB50_12
; %bb.21:                               ;   in Loop: Header=BB50_13 Depth=1
	s_and_saveexec_b64 s[12:13], s[4:5]
	s_cbranch_execz .LBB50_24
; %bb.22:                               ;   in Loop: Header=BB50_13 Depth=1
	v_mov_b32_e32 v12, v17
	v_mov_b32_e32 v13, v7
	s_mov_b32 s29, s3
.LBB50_23:                              ;   Parent Loop BB50_13 Depth=1
                                        ; =>  This Inner Loop Header: Depth=2
	ds_read_b32 v14, v12
	ds_read_b32 v15, v13
	s_add_i32 s29, s29, -1
	v_add_u32_e32 v13, 4, v13
	v_add_u32_e32 v12, 4, v12
	s_cmp_lg_u32 s29, 0
	s_waitcnt lgkmcnt(0)
	v_fma_f32 v0, v14, v15, v0
	s_cbranch_scc1 .LBB50_23
.LBB50_24:                              ;   in Loop: Header=BB50_13 Depth=1
	s_or_b64 exec, exec, s[12:13]
	s_and_saveexec_b64 s[12:13], s[6:7]
	s_cbranch_execz .LBB50_11
; %bb.25:                               ;   in Loop: Header=BB50_13 Depth=1
	v_mov_b32_e32 v12, v17
	s_mov_b32 s29, s3
	v_mov_b32_e32 v13, v18
.LBB50_26:                              ;   Parent Loop BB50_13 Depth=1
                                        ; =>  This Inner Loop Header: Depth=2
	ds_read_b32 v14, v12
	ds_read_b32 v15, v13
	s_add_i32 s29, s29, -1
	v_add_u32_e32 v13, 4, v13
	v_add_u32_e32 v12, 4, v12
	s_cmp_lg_u32 s29, 0
	s_waitcnt lgkmcnt(0)
	v_fma_f32 v1, v14, v15, v1
	s_cbranch_scc1 .LBB50_26
	s_branch .LBB50_11
.LBB50_27:
	v_mov_b32_e32 v0, 0
	v_mov_b32_e32 v1, v0
.LBB50_28:
	s_and_b64 s[4:5], s[30:31], vcc
	s_and_saveexec_b64 s[6:7], s[4:5]
	s_cbranch_execz .LBB50_48
; %bb.29:
	s_mul_i32 s2, s3, s2
	v_add_u32_e32 v6, s2, v6
	s_load_dwordx2 s[2:3], s[0:1], 0x70
	v_ashrrev_i32_e32 v7, 31, v6
	s_cmp_lg_u32 s16, 1
	v_cmp_neq_f32_e64 s[0:1], s28, 0
	s_cselect_b64 s[4:5], -1, 0
	s_waitcnt lgkmcnt(0)
	v_mul_lo_u32 v3, s2, v7
	v_mul_lo_u32 v5, s3, v6
	v_mad_u64_u32 v[8:9], s[6:7], s2, v6, 0
	v_add3_u32 v9, v9, v3, v5
	v_lshl_add_u64 v[8:9], v[8:9], 2, s[36:37]
	v_lshl_add_u64 v[6:7], v[6:7], 2, s[36:37]
	v_cmp_gt_i32_e32 vcc, s15, v4
	s_and_saveexec_b64 s[6:7], vcc
	s_cbranch_execz .LBB50_41
; %bb.30:
	s_and_b64 vcc, exec, s[0:1]
	v_ashrrev_i32_e32 v5, 31, v4
	s_mov_b64 s[8:9], -1
	s_cbranch_vccz .LBB50_36
; %bb.31:
	s_and_b64 vcc, exec, s[4:5]
	s_cbranch_vccz .LBB50_33
; %bb.32:
	v_lshl_add_u64 v[10:11], v[4:5], 2, v[8:9]
	global_load_dword v3, v[10:11], off
	v_mul_f32_e32 v12, s18, v0
	s_mov_b64 s[8:9], 0
	s_waitcnt vmcnt(0)
	v_fmac_f32_e32 v12, s28, v3
	global_store_dword v[10:11], v12, off
.LBB50_33:
	s_andn2_b64 vcc, exec, s[8:9]
	s_cbranch_vccnz .LBB50_35
; %bb.34:
	v_mul_lo_u32 v3, s3, v4
	v_mul_lo_u32 v12, s2, v5
	v_mad_u64_u32 v[10:11], s[8:9], s2, v4, 0
	v_add3_u32 v11, v11, v12, v3
	v_lshl_add_u64 v[10:11], v[10:11], 2, v[6:7]
	global_load_dword v3, v[10:11], off
	v_mul_f32_e32 v12, s18, v0
	s_waitcnt vmcnt(0)
	v_fmac_f32_e32 v12, s28, v3
	global_store_dword v[10:11], v12, off
.LBB50_35:
	s_mov_b64 s[8:9], 0
.LBB50_36:
	s_andn2_b64 vcc, exec, s[8:9]
	s_cbranch_vccnz .LBB50_41
; %bb.37:
	v_mul_f32_e32 v0, s18, v0
	s_mov_b64 s[8:9], -1
	s_and_b64 vcc, exec, s[4:5]
	s_cbranch_vccz .LBB50_39
; %bb.38:
	v_lshl_add_u64 v[10:11], v[4:5], 2, v[8:9]
	global_store_dword v[10:11], v0, off
	s_mov_b64 s[8:9], 0
.LBB50_39:
	s_andn2_b64 vcc, exec, s[8:9]
	s_cbranch_vccnz .LBB50_41
; %bb.40:
	v_mul_lo_u32 v3, s3, v4
	v_mul_lo_u32 v10, s2, v5
	v_mad_u64_u32 v[4:5], s[8:9], s2, v4, 0
	v_add3_u32 v5, v5, v10, v3
	v_lshl_add_u64 v[4:5], v[4:5], 2, v[6:7]
	global_store_dword v[4:5], v0, off
.LBB50_41:
	s_or_b64 exec, exec, s[6:7]
	v_cmp_gt_i32_e32 vcc, s15, v2
	s_and_b64 exec, exec, vcc
	s_cbranch_execz .LBB50_48
; %bb.42:
	v_cndmask_b32_e64 v0, 0, 1, s[4:5]
	s_andn2_b64 vcc, exec, s[0:1]
	v_ashrrev_i32_e32 v3, 31, v2
	v_cmp_ne_u32_e64 s[0:1], 1, v0
	s_cbranch_vccnz .LBB50_49
; %bb.43:
	s_and_b64 vcc, exec, s[0:1]
	s_mov_b64 s[4:5], -1
	s_cbranch_vccnz .LBB50_45
; %bb.44:
	v_lshl_add_u64 v[4:5], v[2:3], 2, v[8:9]
	global_load_dword v0, v[4:5], off
	v_mul_f32_e32 v10, s18, v1
	s_mov_b64 s[4:5], 0
	s_waitcnt vmcnt(0)
	v_fmac_f32_e32 v10, s28, v0
	global_store_dword v[4:5], v10, off
.LBB50_45:
	s_andn2_b64 vcc, exec, s[4:5]
	s_cbranch_vccnz .LBB50_47
; %bb.46:
	v_mul_lo_u32 v0, s3, v2
	v_mul_lo_u32 v10, s2, v3
	v_mad_u64_u32 v[4:5], s[4:5], s2, v2, 0
	v_add3_u32 v5, v5, v10, v0
	v_lshl_add_u64 v[4:5], v[4:5], 2, v[6:7]
	global_load_dword v0, v[4:5], off
	v_mul_f32_e32 v10, s18, v1
	s_waitcnt vmcnt(0)
	v_fmac_f32_e32 v10, s28, v0
	global_store_dword v[4:5], v10, off
.LBB50_47:
	s_cbranch_execz .LBB50_50
.LBB50_48:
	s_endpgm
.LBB50_49:
.LBB50_50:
	v_mul_f32_e32 v0, s18, v1
	s_and_b64 vcc, exec, s[0:1]
	s_mov_b64 s[0:1], -1
	s_cbranch_vccnz .LBB50_52
; %bb.51:
	v_lshl_add_u64 v[4:5], v[2:3], 2, v[8:9]
	s_mov_b64 s[0:1], 0
	global_store_dword v[4:5], v0, off
.LBB50_52:
	s_andn2_b64 vcc, exec, s[0:1]
	s_cbranch_vccnz .LBB50_48
; %bb.53:
	v_mul_lo_u32 v1, s3, v2
	v_mul_lo_u32 v4, s2, v3
	v_mad_u64_u32 v[2:3], s[0:1], s2, v2, 0
	v_add3_u32 v3, v3, v4, v1
	v_lshl_add_u64 v[2:3], v[2:3], 2, v[6:7]
	global_store_dword v[2:3], v0, off
	s_endpgm
	.section	.rodata,"a",@progbits
	.p2align	6, 0x0
	.amdhsa_kernel _ZN9rocsparseL31bsrmm_large_blockdim_kernel_extILj16ELj16ELj2EiiDF16_DF16_ffEEvb20rocsparse_direction_T3_S2_llNS_24const_host_device_scalarIT7_EEPKT2_PKS2_PKT4_S2_PKT5_llS5_PT6_ll16rocsparse_order_21rocsparse_index_base_b
		.amdhsa_group_segment_fixed_size 3072
		.amdhsa_private_segment_fixed_size 0
		.amdhsa_kernarg_size 140
		.amdhsa_user_sgpr_count 2
		.amdhsa_user_sgpr_dispatch_ptr 0
		.amdhsa_user_sgpr_queue_ptr 0
		.amdhsa_user_sgpr_kernarg_segment_ptr 1
		.amdhsa_user_sgpr_dispatch_id 0
		.amdhsa_user_sgpr_kernarg_preload_length 0
		.amdhsa_user_sgpr_kernarg_preload_offset 0
		.amdhsa_user_sgpr_private_segment_size 0
		.amdhsa_uses_dynamic_stack 0
		.amdhsa_enable_private_segment 0
		.amdhsa_system_sgpr_workgroup_id_x 1
		.amdhsa_system_sgpr_workgroup_id_y 1
		.amdhsa_system_sgpr_workgroup_id_z 0
		.amdhsa_system_sgpr_workgroup_info 0
		.amdhsa_system_vgpr_workitem_id 1
		.amdhsa_next_free_vgpr 26
		.amdhsa_next_free_sgpr 40
		.amdhsa_accum_offset 28
		.amdhsa_reserve_vcc 1
		.amdhsa_float_round_mode_32 0
		.amdhsa_float_round_mode_16_64 0
		.amdhsa_float_denorm_mode_32 3
		.amdhsa_float_denorm_mode_16_64 3
		.amdhsa_dx10_clamp 1
		.amdhsa_ieee_mode 1
		.amdhsa_fp16_overflow 0
		.amdhsa_tg_split 0
		.amdhsa_exception_fp_ieee_invalid_op 0
		.amdhsa_exception_fp_denorm_src 0
		.amdhsa_exception_fp_ieee_div_zero 0
		.amdhsa_exception_fp_ieee_overflow 0
		.amdhsa_exception_fp_ieee_underflow 0
		.amdhsa_exception_fp_ieee_inexact 0
		.amdhsa_exception_int_div_zero 0
	.end_amdhsa_kernel
	.section	.text._ZN9rocsparseL31bsrmm_large_blockdim_kernel_extILj16ELj16ELj2EiiDF16_DF16_ffEEvb20rocsparse_direction_T3_S2_llNS_24const_host_device_scalarIT7_EEPKT2_PKS2_PKT4_S2_PKT5_llS5_PT6_ll16rocsparse_order_21rocsparse_index_base_b,"axG",@progbits,_ZN9rocsparseL31bsrmm_large_blockdim_kernel_extILj16ELj16ELj2EiiDF16_DF16_ffEEvb20rocsparse_direction_T3_S2_llNS_24const_host_device_scalarIT7_EEPKT2_PKS2_PKT4_S2_PKT5_llS5_PT6_ll16rocsparse_order_21rocsparse_index_base_b,comdat
.Lfunc_end50:
	.size	_ZN9rocsparseL31bsrmm_large_blockdim_kernel_extILj16ELj16ELj2EiiDF16_DF16_ffEEvb20rocsparse_direction_T3_S2_llNS_24const_host_device_scalarIT7_EEPKT2_PKS2_PKT4_S2_PKT5_llS5_PT6_ll16rocsparse_order_21rocsparse_index_base_b, .Lfunc_end50-_ZN9rocsparseL31bsrmm_large_blockdim_kernel_extILj16ELj16ELj2EiiDF16_DF16_ffEEvb20rocsparse_direction_T3_S2_llNS_24const_host_device_scalarIT7_EEPKT2_PKS2_PKT4_S2_PKT5_llS5_PT6_ll16rocsparse_order_21rocsparse_index_base_b
                                        ; -- End function
	.set _ZN9rocsparseL31bsrmm_large_blockdim_kernel_extILj16ELj16ELj2EiiDF16_DF16_ffEEvb20rocsparse_direction_T3_S2_llNS_24const_host_device_scalarIT7_EEPKT2_PKS2_PKT4_S2_PKT5_llS5_PT6_ll16rocsparse_order_21rocsparse_index_base_b.num_vgpr, 26
	.set _ZN9rocsparseL31bsrmm_large_blockdim_kernel_extILj16ELj16ELj2EiiDF16_DF16_ffEEvb20rocsparse_direction_T3_S2_llNS_24const_host_device_scalarIT7_EEPKT2_PKS2_PKT4_S2_PKT5_llS5_PT6_ll16rocsparse_order_21rocsparse_index_base_b.num_agpr, 0
	.set _ZN9rocsparseL31bsrmm_large_blockdim_kernel_extILj16ELj16ELj2EiiDF16_DF16_ffEEvb20rocsparse_direction_T3_S2_llNS_24const_host_device_scalarIT7_EEPKT2_PKS2_PKT4_S2_PKT5_llS5_PT6_ll16rocsparse_order_21rocsparse_index_base_b.numbered_sgpr, 40
	.set _ZN9rocsparseL31bsrmm_large_blockdim_kernel_extILj16ELj16ELj2EiiDF16_DF16_ffEEvb20rocsparse_direction_T3_S2_llNS_24const_host_device_scalarIT7_EEPKT2_PKS2_PKT4_S2_PKT5_llS5_PT6_ll16rocsparse_order_21rocsparse_index_base_b.num_named_barrier, 0
	.set _ZN9rocsparseL31bsrmm_large_blockdim_kernel_extILj16ELj16ELj2EiiDF16_DF16_ffEEvb20rocsparse_direction_T3_S2_llNS_24const_host_device_scalarIT7_EEPKT2_PKS2_PKT4_S2_PKT5_llS5_PT6_ll16rocsparse_order_21rocsparse_index_base_b.private_seg_size, 0
	.set _ZN9rocsparseL31bsrmm_large_blockdim_kernel_extILj16ELj16ELj2EiiDF16_DF16_ffEEvb20rocsparse_direction_T3_S2_llNS_24const_host_device_scalarIT7_EEPKT2_PKS2_PKT4_S2_PKT5_llS5_PT6_ll16rocsparse_order_21rocsparse_index_base_b.uses_vcc, 1
	.set _ZN9rocsparseL31bsrmm_large_blockdim_kernel_extILj16ELj16ELj2EiiDF16_DF16_ffEEvb20rocsparse_direction_T3_S2_llNS_24const_host_device_scalarIT7_EEPKT2_PKS2_PKT4_S2_PKT5_llS5_PT6_ll16rocsparse_order_21rocsparse_index_base_b.uses_flat_scratch, 0
	.set _ZN9rocsparseL31bsrmm_large_blockdim_kernel_extILj16ELj16ELj2EiiDF16_DF16_ffEEvb20rocsparse_direction_T3_S2_llNS_24const_host_device_scalarIT7_EEPKT2_PKS2_PKT4_S2_PKT5_llS5_PT6_ll16rocsparse_order_21rocsparse_index_base_b.has_dyn_sized_stack, 0
	.set _ZN9rocsparseL31bsrmm_large_blockdim_kernel_extILj16ELj16ELj2EiiDF16_DF16_ffEEvb20rocsparse_direction_T3_S2_llNS_24const_host_device_scalarIT7_EEPKT2_PKS2_PKT4_S2_PKT5_llS5_PT6_ll16rocsparse_order_21rocsparse_index_base_b.has_recursion, 0
	.set _ZN9rocsparseL31bsrmm_large_blockdim_kernel_extILj16ELj16ELj2EiiDF16_DF16_ffEEvb20rocsparse_direction_T3_S2_llNS_24const_host_device_scalarIT7_EEPKT2_PKS2_PKT4_S2_PKT5_llS5_PT6_ll16rocsparse_order_21rocsparse_index_base_b.has_indirect_call, 0
	.section	.AMDGPU.csdata,"",@progbits
; Kernel info:
; codeLenInByte = 1636
; TotalNumSgprs: 46
; NumVgprs: 26
; NumAgprs: 0
; TotalNumVgprs: 26
; ScratchSize: 0
; MemoryBound: 0
; FloatMode: 240
; IeeeMode: 1
; LDSByteSize: 3072 bytes/workgroup (compile time only)
; SGPRBlocks: 5
; VGPRBlocks: 3
; NumSGPRsForWavesPerEU: 46
; NumVGPRsForWavesPerEU: 26
; AccumOffset: 28
; Occupancy: 8
; WaveLimiterHint : 1
; COMPUTE_PGM_RSRC2:SCRATCH_EN: 0
; COMPUTE_PGM_RSRC2:USER_SGPR: 2
; COMPUTE_PGM_RSRC2:TRAP_HANDLER: 0
; COMPUTE_PGM_RSRC2:TGID_X_EN: 1
; COMPUTE_PGM_RSRC2:TGID_Y_EN: 1
; COMPUTE_PGM_RSRC2:TGID_Z_EN: 0
; COMPUTE_PGM_RSRC2:TIDIG_COMP_CNT: 1
; COMPUTE_PGM_RSRC3_GFX90A:ACCUM_OFFSET: 6
; COMPUTE_PGM_RSRC3_GFX90A:TG_SPLIT: 0
	.section	.text._ZN9rocsparseL31bsrmm_large_blockdim_kernel_extILj32ELj32ELj2EiiDF16_DF16_ffEEvb20rocsparse_direction_T3_S2_llNS_24const_host_device_scalarIT7_EEPKT2_PKS2_PKT4_S2_PKT5_llS5_PT6_ll16rocsparse_order_21rocsparse_index_base_b,"axG",@progbits,_ZN9rocsparseL31bsrmm_large_blockdim_kernel_extILj32ELj32ELj2EiiDF16_DF16_ffEEvb20rocsparse_direction_T3_S2_llNS_24const_host_device_scalarIT7_EEPKT2_PKS2_PKT4_S2_PKT5_llS5_PT6_ll16rocsparse_order_21rocsparse_index_base_b,comdat
	.globl	_ZN9rocsparseL31bsrmm_large_blockdim_kernel_extILj32ELj32ELj2EiiDF16_DF16_ffEEvb20rocsparse_direction_T3_S2_llNS_24const_host_device_scalarIT7_EEPKT2_PKS2_PKT4_S2_PKT5_llS5_PT6_ll16rocsparse_order_21rocsparse_index_base_b ; -- Begin function _ZN9rocsparseL31bsrmm_large_blockdim_kernel_extILj32ELj32ELj2EiiDF16_DF16_ffEEvb20rocsparse_direction_T3_S2_llNS_24const_host_device_scalarIT7_EEPKT2_PKS2_PKT4_S2_PKT5_llS5_PT6_ll16rocsparse_order_21rocsparse_index_base_b
	.p2align	8
	.type	_ZN9rocsparseL31bsrmm_large_blockdim_kernel_extILj32ELj32ELj2EiiDF16_DF16_ffEEvb20rocsparse_direction_T3_S2_llNS_24const_host_device_scalarIT7_EEPKT2_PKS2_PKT4_S2_PKT5_llS5_PT6_ll16rocsparse_order_21rocsparse_index_base_b,@function
_ZN9rocsparseL31bsrmm_large_blockdim_kernel_extILj32ELj32ELj2EiiDF16_DF16_ffEEvb20rocsparse_direction_T3_S2_llNS_24const_host_device_scalarIT7_EEPKT2_PKS2_PKT4_S2_PKT5_llS5_PT6_ll16rocsparse_order_21rocsparse_index_base_b: ; @_ZN9rocsparseL31bsrmm_large_blockdim_kernel_extILj32ELj32ELj2EiiDF16_DF16_ffEEvb20rocsparse_direction_T3_S2_llNS_24const_host_device_scalarIT7_EEPKT2_PKS2_PKT4_S2_PKT5_llS5_PT6_ll16rocsparse_order_21rocsparse_index_base_b
; %bb.0:
	s_load_dwordx4 s[16:19], s[0:1], 0x80
	s_mov_b32 s4, s3
	s_waitcnt lgkmcnt(0)
	s_bitcmp1_b32 s18, 0
	s_load_dwordx2 s[18:19], s[0:1], 0x20
	s_load_dwordx2 s[28:29], s[0:1], 0x60
	s_cselect_b64 s[8:9], -1, 0
	s_xor_b64 s[6:7], s[8:9], -1
	s_and_b64 vcc, exec, s[8:9]
	s_cbranch_vccnz .LBB51_2
; %bb.1:
	s_waitcnt lgkmcnt(0)
	s_load_dword s18, s[18:19], 0x0
.LBB51_2:
	s_andn2_b64 vcc, exec, s[6:7]
	s_cbranch_vccnz .LBB51_4
; %bb.3:
	s_waitcnt lgkmcnt(0)
	s_load_dword s28, s[28:29], 0x0
.LBB51_4:
	s_waitcnt lgkmcnt(0)
	v_cmp_eq_f32_e64 s[6:7], s18, 0
	v_cmp_eq_f32_e64 s[8:9], s28, 1.0
	s_and_b64 s[6:7], s[6:7], s[8:9]
	s_mov_b32 s34, 0
	s_and_b64 vcc, exec, s[6:7]
	s_cbranch_vccnz .LBB51_48
; %bb.5:
	s_load_dwordx4 s[12:15], s[0:1], 0x0
	s_load_dwordx2 s[6:7], s[0:1], 0x28
	s_waitcnt lgkmcnt(0)
	s_cmp_lt_i32 s2, s14
	s_cselect_b64 s[30:31], -1, 0
	s_cmp_ge_i32 s2, s14
	s_cbranch_scc1 .LBB51_7
; %bb.6:
	s_ashr_i32 s3, s2, 31
	s_lshl_b64 s[8:9], s[2:3], 2
	s_add_u32 s8, s6, s8
	s_addc_u32 s9, s7, s9
	s_load_dword s3, s[8:9], 0x0
	s_waitcnt lgkmcnt(0)
	s_sub_i32 s34, s3, s17
.LBB51_7:
	s_andn2_b64 vcc, exec, s[30:31]
	s_mov_b32 s14, 0
	s_cbranch_vccnz .LBB51_9
; %bb.8:
	s_ashr_i32 s3, s2, 31
	s_lshl_b64 s[8:9], s[2:3], 2
	s_add_u32 s6, s6, s8
	s_addc_u32 s7, s7, s9
	s_load_dword s3, s[6:7], 0x4
	s_waitcnt lgkmcnt(0)
	s_sub_i32 s14, s3, s17
.LBB51_9:
	s_load_dwordx2 s[36:37], s[0:1], 0x68
	s_load_dword s3, s[0:1], 0x40
	v_bfe_u32 v8, v0, 10, 10
	v_lshl_add_u32 v4, s4, 6, v8
	v_add_u32_e32 v2, 32, v4
	v_and_b32_e32 v6, 0x3ff, v0
	s_waitcnt lgkmcnt(0)
	v_cmp_gt_i32_e32 vcc, s3, v6
	s_cmp_ge_i32 s34, s14
	v_cmp_gt_i32_e64 s[4:5], s15, v4
	v_cmp_gt_i32_e64 s[6:7], s15, v2
	s_cbranch_scc1 .LBB51_27
; %bb.10:
	s_load_dwordx4 s[20:23], s[0:1], 0x30
	s_load_dwordx4 s[24:27], s[0:1], 0x48
	v_cmp_gt_i32_e64 s[8:9], s3, v8
	s_and_b64 s[38:39], vcc, s[8:9]
	v_mov_b32_e32 v0, 0x2000
	v_lshlrev_b32_e32 v7, 7, v8
	s_bitcmp1_b32 s12, 0
	v_lshl_or_b32 v14, v8, 2, v0
	v_mad_u64_u32 v[0:1], s[10:11], s3, v8, v[6:7]
	v_ashrrev_i32_e32 v5, 31, v4
	s_cselect_b64 s[8:9], -1, 0
	s_cmp_eq_u32 s13, 0
	v_mad_u64_u32 v[12:13], s[10:11], s3, v6, v[8:9]
	s_waitcnt lgkmcnt(0)
	v_mul_lo_u32 v1, s27, v4
	v_mul_lo_u32 v3, s26, v5
	v_mad_u64_u32 v[8:9], s[10:11], s26, v4, 0
	v_mad_u64_u32 v[10:11], s[10:11], s26, v2, 0
	v_add3_u32 v9, v9, v3, v1
	v_ashrrev_i32_e32 v3, 31, v2
	s_cselect_b64 s[10:11], -1, 0
	v_lshlrev_b32_e32 v15, 2, v6
	v_lshlrev_b32_e32 v20, 7, v6
	v_mul_lo_u32 v1, s27, v2
	v_mul_lo_u32 v13, s26, v3
	v_cndmask_b32_e64 v16, v0, v12, s[10:11]
	v_mov_b32_e32 v0, 0
	s_mul_i32 s19, s3, s3
	v_add3_u32 v11, v11, v13, v1
	v_add_u32_e32 v17, 0x2000, v20
	v_add_u32_e32 v18, 0x1000, v7
	v_mov_b32_e32 v1, v0
	v_add_u32_e32 v19, v15, v7
	v_add_u32_e32 v20, v14, v20
	s_branch .LBB51_13
.LBB51_11:                              ;   in Loop: Header=BB51_13 Depth=1
	s_or_b64 exec, exec, s[12:13]
.LBB51_12:                              ;   in Loop: Header=BB51_13 Depth=1
	s_or_b64 exec, exec, s[10:11]
	s_add_i32 s34, s34, 1
	s_cmp_ge_i32 s34, s14
	s_barrier
	s_cbranch_scc1 .LBB51_28
.LBB51_13:                              ; =>This Loop Header: Depth=1
                                        ;     Child Loop BB51_23 Depth 2
                                        ;     Child Loop BB51_26 Depth 2
	s_and_saveexec_b64 s[10:11], vcc
	s_cbranch_execz .LBB51_18
; %bb.14:                               ;   in Loop: Header=BB51_13 Depth=1
	s_ashr_i32 s35, s34, 31
	s_lshl_b64 s[12:13], s[34:35], 2
	s_add_u32 s12, s20, s12
	s_addc_u32 s13, s21, s13
	s_load_dword s12, s[12:13], 0x0
	s_waitcnt lgkmcnt(0)
	s_sub_i32 s12, s12, s17
	s_mul_i32 s12, s12, s3
	v_add_u32_e32 v14, s12, v6
	v_ashrrev_i32_e32 v15, 31, v14
	v_mul_lo_u32 v21, s27, v14
	v_mad_u64_u32 v[12:13], s[12:13], s26, v14, 0
	v_mul_lo_u32 v22, s26, v15
	v_add3_u32 v13, v13, v22, v21
	v_lshl_add_u64 v[12:13], v[12:13], 1, s[24:25]
	v_lshl_add_u64 v[14:15], v[14:15], 1, s[24:25]
	s_and_saveexec_b64 s[12:13], s[4:5]
	s_cbranch_execz .LBB51_16
; %bb.15:                               ;   in Loop: Header=BB51_13 Depth=1
	v_lshl_add_u64 v[22:23], v[4:5], 1, v[12:13]
	v_lshl_add_u64 v[24:25], v[8:9], 1, v[14:15]
	v_cndmask_b32_e64 v23, v23, v25, s[8:9]
	v_cndmask_b32_e64 v22, v22, v24, s[8:9]
	global_load_ushort v21, v[22:23], off
	s_waitcnt vmcnt(0)
	v_cvt_f32_f16_e32 v21, v21
	ds_write_b32 v19, v21
.LBB51_16:                              ;   in Loop: Header=BB51_13 Depth=1
	s_or_b64 exec, exec, s[12:13]
	s_and_b64 exec, exec, s[6:7]
	s_cbranch_execz .LBB51_18
; %bb.17:                               ;   in Loop: Header=BB51_13 Depth=1
	v_lshl_add_u64 v[14:15], v[10:11], 1, v[14:15]
	v_lshl_add_u64 v[12:13], v[2:3], 1, v[12:13]
	v_cndmask_b32_e64 v13, v13, v15, s[8:9]
	v_cndmask_b32_e64 v12, v12, v14, s[8:9]
	global_load_ushort v12, v[12:13], off
	s_waitcnt vmcnt(0)
	v_cvt_f32_f16_e32 v12, v12
	ds_write_b32 v19, v12 offset:4096
.LBB51_18:                              ;   in Loop: Header=BB51_13 Depth=1
	s_or_b64 exec, exec, s[10:11]
	s_and_saveexec_b64 s[10:11], s[38:39]
	s_cbranch_execz .LBB51_20
; %bb.19:                               ;   in Loop: Header=BB51_13 Depth=1
	s_mul_i32 s12, s19, s34
	v_add_u32_e32 v12, s12, v16
	v_ashrrev_i32_e32 v13, 31, v12
	v_lshl_add_u64 v[12:13], v[12:13], 1, s[22:23]
	global_load_ushort v12, v[12:13], off
	s_waitcnt vmcnt(0)
	v_cvt_f32_f16_e32 v12, v12
	ds_write_b32 v20, v12
.LBB51_20:                              ;   in Loop: Header=BB51_13 Depth=1
	s_or_b64 exec, exec, s[10:11]
	s_waitcnt lgkmcnt(0)
	s_barrier
	s_and_saveexec_b64 s[10:11], vcc
	s_cbranch_execz .LBB51_12
; %bb.21:                               ;   in Loop: Header=BB51_13 Depth=1
	s_and_saveexec_b64 s[12:13], s[4:5]
	s_cbranch_execz .LBB51_24
; %bb.22:                               ;   in Loop: Header=BB51_13 Depth=1
	v_mov_b32_e32 v12, v17
	v_mov_b32_e32 v13, v7
	s_mov_b32 s29, s3
.LBB51_23:                              ;   Parent Loop BB51_13 Depth=1
                                        ; =>  This Inner Loop Header: Depth=2
	ds_read_b32 v14, v12
	ds_read_b32 v15, v13
	s_add_i32 s29, s29, -1
	v_add_u32_e32 v13, 4, v13
	v_add_u32_e32 v12, 4, v12
	s_cmp_lg_u32 s29, 0
	s_waitcnt lgkmcnt(0)
	v_fma_f32 v0, v14, v15, v0
	s_cbranch_scc1 .LBB51_23
.LBB51_24:                              ;   in Loop: Header=BB51_13 Depth=1
	s_or_b64 exec, exec, s[12:13]
	s_and_saveexec_b64 s[12:13], s[6:7]
	s_cbranch_execz .LBB51_11
; %bb.25:                               ;   in Loop: Header=BB51_13 Depth=1
	v_mov_b32_e32 v12, v17
	s_mov_b32 s29, s3
	v_mov_b32_e32 v13, v18
.LBB51_26:                              ;   Parent Loop BB51_13 Depth=1
                                        ; =>  This Inner Loop Header: Depth=2
	ds_read_b32 v14, v12
	ds_read_b32 v15, v13
	s_add_i32 s29, s29, -1
	v_add_u32_e32 v13, 4, v13
	v_add_u32_e32 v12, 4, v12
	s_cmp_lg_u32 s29, 0
	s_waitcnt lgkmcnt(0)
	v_fma_f32 v1, v14, v15, v1
	s_cbranch_scc1 .LBB51_26
	s_branch .LBB51_11
.LBB51_27:
	v_mov_b32_e32 v0, 0
	v_mov_b32_e32 v1, v0
.LBB51_28:
	s_and_b64 s[4:5], s[30:31], vcc
	s_and_saveexec_b64 s[6:7], s[4:5]
	s_cbranch_execz .LBB51_48
; %bb.29:
	s_mul_i32 s2, s3, s2
	v_add_u32_e32 v6, s2, v6
	s_load_dwordx2 s[2:3], s[0:1], 0x70
	v_ashrrev_i32_e32 v7, 31, v6
	s_cmp_lg_u32 s16, 1
	v_cmp_neq_f32_e64 s[0:1], s28, 0
	s_cselect_b64 s[4:5], -1, 0
	s_waitcnt lgkmcnt(0)
	v_mul_lo_u32 v3, s2, v7
	v_mul_lo_u32 v5, s3, v6
	v_mad_u64_u32 v[8:9], s[6:7], s2, v6, 0
	v_add3_u32 v9, v9, v3, v5
	v_lshl_add_u64 v[8:9], v[8:9], 2, s[36:37]
	v_lshl_add_u64 v[6:7], v[6:7], 2, s[36:37]
	v_cmp_gt_i32_e32 vcc, s15, v4
	s_and_saveexec_b64 s[6:7], vcc
	s_cbranch_execz .LBB51_41
; %bb.30:
	s_and_b64 vcc, exec, s[0:1]
	v_ashrrev_i32_e32 v5, 31, v4
	s_mov_b64 s[8:9], -1
	s_cbranch_vccz .LBB51_36
; %bb.31:
	s_and_b64 vcc, exec, s[4:5]
	s_cbranch_vccz .LBB51_33
; %bb.32:
	v_lshl_add_u64 v[10:11], v[4:5], 2, v[8:9]
	global_load_dword v3, v[10:11], off
	v_mul_f32_e32 v12, s18, v0
	s_mov_b64 s[8:9], 0
	s_waitcnt vmcnt(0)
	v_fmac_f32_e32 v12, s28, v3
	global_store_dword v[10:11], v12, off
.LBB51_33:
	s_andn2_b64 vcc, exec, s[8:9]
	s_cbranch_vccnz .LBB51_35
; %bb.34:
	v_mul_lo_u32 v3, s3, v4
	v_mul_lo_u32 v12, s2, v5
	v_mad_u64_u32 v[10:11], s[8:9], s2, v4, 0
	v_add3_u32 v11, v11, v12, v3
	v_lshl_add_u64 v[10:11], v[10:11], 2, v[6:7]
	global_load_dword v3, v[10:11], off
	v_mul_f32_e32 v12, s18, v0
	s_waitcnt vmcnt(0)
	v_fmac_f32_e32 v12, s28, v3
	global_store_dword v[10:11], v12, off
.LBB51_35:
	s_mov_b64 s[8:9], 0
.LBB51_36:
	s_andn2_b64 vcc, exec, s[8:9]
	s_cbranch_vccnz .LBB51_41
; %bb.37:
	v_mul_f32_e32 v0, s18, v0
	s_mov_b64 s[8:9], -1
	s_and_b64 vcc, exec, s[4:5]
	s_cbranch_vccz .LBB51_39
; %bb.38:
	v_lshl_add_u64 v[10:11], v[4:5], 2, v[8:9]
	global_store_dword v[10:11], v0, off
	s_mov_b64 s[8:9], 0
.LBB51_39:
	s_andn2_b64 vcc, exec, s[8:9]
	s_cbranch_vccnz .LBB51_41
; %bb.40:
	v_mul_lo_u32 v3, s3, v4
	v_mul_lo_u32 v10, s2, v5
	v_mad_u64_u32 v[4:5], s[8:9], s2, v4, 0
	v_add3_u32 v5, v5, v10, v3
	v_lshl_add_u64 v[4:5], v[4:5], 2, v[6:7]
	global_store_dword v[4:5], v0, off
.LBB51_41:
	s_or_b64 exec, exec, s[6:7]
	v_cmp_gt_i32_e32 vcc, s15, v2
	s_and_b64 exec, exec, vcc
	s_cbranch_execz .LBB51_48
; %bb.42:
	v_cndmask_b32_e64 v0, 0, 1, s[4:5]
	s_andn2_b64 vcc, exec, s[0:1]
	v_ashrrev_i32_e32 v3, 31, v2
	v_cmp_ne_u32_e64 s[0:1], 1, v0
	s_cbranch_vccnz .LBB51_49
; %bb.43:
	s_and_b64 vcc, exec, s[0:1]
	s_mov_b64 s[4:5], -1
	s_cbranch_vccnz .LBB51_45
; %bb.44:
	v_lshl_add_u64 v[4:5], v[2:3], 2, v[8:9]
	global_load_dword v0, v[4:5], off
	v_mul_f32_e32 v10, s18, v1
	s_mov_b64 s[4:5], 0
	s_waitcnt vmcnt(0)
	v_fmac_f32_e32 v10, s28, v0
	global_store_dword v[4:5], v10, off
.LBB51_45:
	s_andn2_b64 vcc, exec, s[4:5]
	s_cbranch_vccnz .LBB51_47
; %bb.46:
	v_mul_lo_u32 v0, s3, v2
	v_mul_lo_u32 v10, s2, v3
	v_mad_u64_u32 v[4:5], s[4:5], s2, v2, 0
	v_add3_u32 v5, v5, v10, v0
	v_lshl_add_u64 v[4:5], v[4:5], 2, v[6:7]
	global_load_dword v0, v[4:5], off
	v_mul_f32_e32 v10, s18, v1
	s_waitcnt vmcnt(0)
	v_fmac_f32_e32 v10, s28, v0
	global_store_dword v[4:5], v10, off
.LBB51_47:
	s_cbranch_execz .LBB51_50
.LBB51_48:
	s_endpgm
.LBB51_49:
.LBB51_50:
	v_mul_f32_e32 v0, s18, v1
	s_and_b64 vcc, exec, s[0:1]
	s_mov_b64 s[0:1], -1
	s_cbranch_vccnz .LBB51_52
; %bb.51:
	v_lshl_add_u64 v[4:5], v[2:3], 2, v[8:9]
	s_mov_b64 s[0:1], 0
	global_store_dword v[4:5], v0, off
.LBB51_52:
	s_andn2_b64 vcc, exec, s[0:1]
	s_cbranch_vccnz .LBB51_48
; %bb.53:
	v_mul_lo_u32 v1, s3, v2
	v_mul_lo_u32 v4, s2, v3
	v_mad_u64_u32 v[2:3], s[0:1], s2, v2, 0
	v_add3_u32 v3, v3, v4, v1
	v_lshl_add_u64 v[2:3], v[2:3], 2, v[6:7]
	global_store_dword v[2:3], v0, off
	s_endpgm
	.section	.rodata,"a",@progbits
	.p2align	6, 0x0
	.amdhsa_kernel _ZN9rocsparseL31bsrmm_large_blockdim_kernel_extILj32ELj32ELj2EiiDF16_DF16_ffEEvb20rocsparse_direction_T3_S2_llNS_24const_host_device_scalarIT7_EEPKT2_PKS2_PKT4_S2_PKT5_llS5_PT6_ll16rocsparse_order_21rocsparse_index_base_b
		.amdhsa_group_segment_fixed_size 12288
		.amdhsa_private_segment_fixed_size 0
		.amdhsa_kernarg_size 140
		.amdhsa_user_sgpr_count 2
		.amdhsa_user_sgpr_dispatch_ptr 0
		.amdhsa_user_sgpr_queue_ptr 0
		.amdhsa_user_sgpr_kernarg_segment_ptr 1
		.amdhsa_user_sgpr_dispatch_id 0
		.amdhsa_user_sgpr_kernarg_preload_length 0
		.amdhsa_user_sgpr_kernarg_preload_offset 0
		.amdhsa_user_sgpr_private_segment_size 0
		.amdhsa_uses_dynamic_stack 0
		.amdhsa_enable_private_segment 0
		.amdhsa_system_sgpr_workgroup_id_x 1
		.amdhsa_system_sgpr_workgroup_id_y 1
		.amdhsa_system_sgpr_workgroup_id_z 0
		.amdhsa_system_sgpr_workgroup_info 0
		.amdhsa_system_vgpr_workitem_id 1
		.amdhsa_next_free_vgpr 26
		.amdhsa_next_free_sgpr 40
		.amdhsa_accum_offset 28
		.amdhsa_reserve_vcc 1
		.amdhsa_float_round_mode_32 0
		.amdhsa_float_round_mode_16_64 0
		.amdhsa_float_denorm_mode_32 3
		.amdhsa_float_denorm_mode_16_64 3
		.amdhsa_dx10_clamp 1
		.amdhsa_ieee_mode 1
		.amdhsa_fp16_overflow 0
		.amdhsa_tg_split 0
		.amdhsa_exception_fp_ieee_invalid_op 0
		.amdhsa_exception_fp_denorm_src 0
		.amdhsa_exception_fp_ieee_div_zero 0
		.amdhsa_exception_fp_ieee_overflow 0
		.amdhsa_exception_fp_ieee_underflow 0
		.amdhsa_exception_fp_ieee_inexact 0
		.amdhsa_exception_int_div_zero 0
	.end_amdhsa_kernel
	.section	.text._ZN9rocsparseL31bsrmm_large_blockdim_kernel_extILj32ELj32ELj2EiiDF16_DF16_ffEEvb20rocsparse_direction_T3_S2_llNS_24const_host_device_scalarIT7_EEPKT2_PKS2_PKT4_S2_PKT5_llS5_PT6_ll16rocsparse_order_21rocsparse_index_base_b,"axG",@progbits,_ZN9rocsparseL31bsrmm_large_blockdim_kernel_extILj32ELj32ELj2EiiDF16_DF16_ffEEvb20rocsparse_direction_T3_S2_llNS_24const_host_device_scalarIT7_EEPKT2_PKS2_PKT4_S2_PKT5_llS5_PT6_ll16rocsparse_order_21rocsparse_index_base_b,comdat
.Lfunc_end51:
	.size	_ZN9rocsparseL31bsrmm_large_blockdim_kernel_extILj32ELj32ELj2EiiDF16_DF16_ffEEvb20rocsparse_direction_T3_S2_llNS_24const_host_device_scalarIT7_EEPKT2_PKS2_PKT4_S2_PKT5_llS5_PT6_ll16rocsparse_order_21rocsparse_index_base_b, .Lfunc_end51-_ZN9rocsparseL31bsrmm_large_blockdim_kernel_extILj32ELj32ELj2EiiDF16_DF16_ffEEvb20rocsparse_direction_T3_S2_llNS_24const_host_device_scalarIT7_EEPKT2_PKS2_PKT4_S2_PKT5_llS5_PT6_ll16rocsparse_order_21rocsparse_index_base_b
                                        ; -- End function
	.set _ZN9rocsparseL31bsrmm_large_blockdim_kernel_extILj32ELj32ELj2EiiDF16_DF16_ffEEvb20rocsparse_direction_T3_S2_llNS_24const_host_device_scalarIT7_EEPKT2_PKS2_PKT4_S2_PKT5_llS5_PT6_ll16rocsparse_order_21rocsparse_index_base_b.num_vgpr, 26
	.set _ZN9rocsparseL31bsrmm_large_blockdim_kernel_extILj32ELj32ELj2EiiDF16_DF16_ffEEvb20rocsparse_direction_T3_S2_llNS_24const_host_device_scalarIT7_EEPKT2_PKS2_PKT4_S2_PKT5_llS5_PT6_ll16rocsparse_order_21rocsparse_index_base_b.num_agpr, 0
	.set _ZN9rocsparseL31bsrmm_large_blockdim_kernel_extILj32ELj32ELj2EiiDF16_DF16_ffEEvb20rocsparse_direction_T3_S2_llNS_24const_host_device_scalarIT7_EEPKT2_PKS2_PKT4_S2_PKT5_llS5_PT6_ll16rocsparse_order_21rocsparse_index_base_b.numbered_sgpr, 40
	.set _ZN9rocsparseL31bsrmm_large_blockdim_kernel_extILj32ELj32ELj2EiiDF16_DF16_ffEEvb20rocsparse_direction_T3_S2_llNS_24const_host_device_scalarIT7_EEPKT2_PKS2_PKT4_S2_PKT5_llS5_PT6_ll16rocsparse_order_21rocsparse_index_base_b.num_named_barrier, 0
	.set _ZN9rocsparseL31bsrmm_large_blockdim_kernel_extILj32ELj32ELj2EiiDF16_DF16_ffEEvb20rocsparse_direction_T3_S2_llNS_24const_host_device_scalarIT7_EEPKT2_PKS2_PKT4_S2_PKT5_llS5_PT6_ll16rocsparse_order_21rocsparse_index_base_b.private_seg_size, 0
	.set _ZN9rocsparseL31bsrmm_large_blockdim_kernel_extILj32ELj32ELj2EiiDF16_DF16_ffEEvb20rocsparse_direction_T3_S2_llNS_24const_host_device_scalarIT7_EEPKT2_PKS2_PKT4_S2_PKT5_llS5_PT6_ll16rocsparse_order_21rocsparse_index_base_b.uses_vcc, 1
	.set _ZN9rocsparseL31bsrmm_large_blockdim_kernel_extILj32ELj32ELj2EiiDF16_DF16_ffEEvb20rocsparse_direction_T3_S2_llNS_24const_host_device_scalarIT7_EEPKT2_PKS2_PKT4_S2_PKT5_llS5_PT6_ll16rocsparse_order_21rocsparse_index_base_b.uses_flat_scratch, 0
	.set _ZN9rocsparseL31bsrmm_large_blockdim_kernel_extILj32ELj32ELj2EiiDF16_DF16_ffEEvb20rocsparse_direction_T3_S2_llNS_24const_host_device_scalarIT7_EEPKT2_PKS2_PKT4_S2_PKT5_llS5_PT6_ll16rocsparse_order_21rocsparse_index_base_b.has_dyn_sized_stack, 0
	.set _ZN9rocsparseL31bsrmm_large_blockdim_kernel_extILj32ELj32ELj2EiiDF16_DF16_ffEEvb20rocsparse_direction_T3_S2_llNS_24const_host_device_scalarIT7_EEPKT2_PKS2_PKT4_S2_PKT5_llS5_PT6_ll16rocsparse_order_21rocsparse_index_base_b.has_recursion, 0
	.set _ZN9rocsparseL31bsrmm_large_blockdim_kernel_extILj32ELj32ELj2EiiDF16_DF16_ffEEvb20rocsparse_direction_T3_S2_llNS_24const_host_device_scalarIT7_EEPKT2_PKS2_PKT4_S2_PKT5_llS5_PT6_ll16rocsparse_order_21rocsparse_index_base_b.has_indirect_call, 0
	.section	.AMDGPU.csdata,"",@progbits
; Kernel info:
; codeLenInByte = 1636
; TotalNumSgprs: 46
; NumVgprs: 26
; NumAgprs: 0
; TotalNumVgprs: 26
; ScratchSize: 0
; MemoryBound: 0
; FloatMode: 240
; IeeeMode: 1
; LDSByteSize: 12288 bytes/workgroup (compile time only)
; SGPRBlocks: 5
; VGPRBlocks: 3
; NumSGPRsForWavesPerEU: 46
; NumVGPRsForWavesPerEU: 26
; AccumOffset: 28
; Occupancy: 8
; WaveLimiterHint : 1
; COMPUTE_PGM_RSRC2:SCRATCH_EN: 0
; COMPUTE_PGM_RSRC2:USER_SGPR: 2
; COMPUTE_PGM_RSRC2:TRAP_HANDLER: 0
; COMPUTE_PGM_RSRC2:TGID_X_EN: 1
; COMPUTE_PGM_RSRC2:TGID_Y_EN: 1
; COMPUTE_PGM_RSRC2:TGID_Z_EN: 0
; COMPUTE_PGM_RSRC2:TIDIG_COMP_CNT: 1
; COMPUTE_PGM_RSRC3_GFX90A:ACCUM_OFFSET: 6
; COMPUTE_PGM_RSRC3_GFX90A:TG_SPLIT: 0
	.section	.text._ZN9rocsparseL31bsrmm_large_blockdim_kernel_extILj8ELj8ELj2EliDF16_DF16_ffEEvb20rocsparse_direction_T3_S2_llNS_24const_host_device_scalarIT7_EEPKT2_PKS2_PKT4_S2_PKT5_llS5_PT6_ll16rocsparse_order_21rocsparse_index_base_b,"axG",@progbits,_ZN9rocsparseL31bsrmm_large_blockdim_kernel_extILj8ELj8ELj2EliDF16_DF16_ffEEvb20rocsparse_direction_T3_S2_llNS_24const_host_device_scalarIT7_EEPKT2_PKS2_PKT4_S2_PKT5_llS5_PT6_ll16rocsparse_order_21rocsparse_index_base_b,comdat
	.globl	_ZN9rocsparseL31bsrmm_large_blockdim_kernel_extILj8ELj8ELj2EliDF16_DF16_ffEEvb20rocsparse_direction_T3_S2_llNS_24const_host_device_scalarIT7_EEPKT2_PKS2_PKT4_S2_PKT5_llS5_PT6_ll16rocsparse_order_21rocsparse_index_base_b ; -- Begin function _ZN9rocsparseL31bsrmm_large_blockdim_kernel_extILj8ELj8ELj2EliDF16_DF16_ffEEvb20rocsparse_direction_T3_S2_llNS_24const_host_device_scalarIT7_EEPKT2_PKS2_PKT4_S2_PKT5_llS5_PT6_ll16rocsparse_order_21rocsparse_index_base_b
	.p2align	8
	.type	_ZN9rocsparseL31bsrmm_large_blockdim_kernel_extILj8ELj8ELj2EliDF16_DF16_ffEEvb20rocsparse_direction_T3_S2_llNS_24const_host_device_scalarIT7_EEPKT2_PKS2_PKT4_S2_PKT5_llS5_PT6_ll16rocsparse_order_21rocsparse_index_base_b,@function
_ZN9rocsparseL31bsrmm_large_blockdim_kernel_extILj8ELj8ELj2EliDF16_DF16_ffEEvb20rocsparse_direction_T3_S2_llNS_24const_host_device_scalarIT7_EEPKT2_PKS2_PKT4_S2_PKT5_llS5_PT6_ll16rocsparse_order_21rocsparse_index_base_b: ; @_ZN9rocsparseL31bsrmm_large_blockdim_kernel_extILj8ELj8ELj2EliDF16_DF16_ffEEvb20rocsparse_direction_T3_S2_llNS_24const_host_device_scalarIT7_EEPKT2_PKS2_PKT4_S2_PKT5_llS5_PT6_ll16rocsparse_order_21rocsparse_index_base_b
; %bb.0:
	s_load_dwordx4 s[16:19], s[0:1], 0x80
	s_mov_b32 s4, s3
	s_waitcnt lgkmcnt(0)
	s_bitcmp1_b32 s18, 0
	s_load_dwordx2 s[18:19], s[0:1], 0x20
	s_load_dwordx2 s[28:29], s[0:1], 0x60
	s_cselect_b64 s[8:9], -1, 0
	s_xor_b64 s[6:7], s[8:9], -1
	s_and_b64 vcc, exec, s[8:9]
	s_cbranch_vccnz .LBB52_2
; %bb.1:
	s_waitcnt lgkmcnt(0)
	s_load_dword s18, s[18:19], 0x0
.LBB52_2:
	s_andn2_b64 vcc, exec, s[6:7]
	s_cbranch_vccnz .LBB52_4
; %bb.3:
	s_waitcnt lgkmcnt(0)
	s_load_dword s28, s[28:29], 0x0
.LBB52_4:
	s_waitcnt lgkmcnt(0)
	v_cmp_eq_f32_e64 s[6:7], s18, 0
	v_cmp_eq_f32_e64 s[8:9], s28, 1.0
	s_and_b64 s[6:7], s[6:7], s[8:9]
	s_and_b64 vcc, exec, s[6:7]
	s_cbranch_vccnz .LBB52_48
; %bb.5:
	s_load_dwordx4 s[12:15], s[0:1], 0x0
	s_load_dwordx2 s[6:7], s[0:1], 0x28
	s_mov_b64 s[34:35], 0
	s_mov_b64 s[38:39], 0
	s_waitcnt lgkmcnt(0)
	s_cmp_lt_i32 s2, s14
	s_cselect_b64 s[30:31], -1, 0
	s_cmp_ge_i32 s2, s14
	s_cbranch_scc1 .LBB52_7
; %bb.6:
	s_ashr_i32 s3, s2, 31
	s_lshl_b64 s[8:9], s[2:3], 3
	s_add_u32 s8, s6, s8
	s_addc_u32 s9, s7, s9
	s_load_dwordx2 s[8:9], s[8:9], 0x0
	s_waitcnt lgkmcnt(0)
	s_sub_u32 s38, s8, s17
	s_subb_u32 s39, s9, 0
.LBB52_7:
	s_andn2_b64 vcc, exec, s[30:31]
	s_cbranch_vccnz .LBB52_9
; %bb.8:
	s_ashr_i32 s3, s2, 31
	s_lshl_b64 s[8:9], s[2:3], 3
	s_add_u32 s6, s6, s8
	s_addc_u32 s7, s7, s9
	s_load_dwordx2 s[6:7], s[6:7], 0x8
	s_waitcnt lgkmcnt(0)
	s_sub_u32 s34, s6, s17
	s_subb_u32 s35, s7, 0
.LBB52_9:
	s_load_dwordx2 s[36:37], s[0:1], 0x68
	s_load_dword s3, s[0:1], 0x40
	v_bfe_u32 v3, v0, 10, 10
	v_lshl_add_u32 v4, s4, 4, v3
	v_and_b32_e32 v16, 0x3ff, v0
	v_mov_b64_e32 v[0:1], s[34:35]
	v_add_u32_e32 v2, 8, v4
	v_cmp_ge_i64_e32 vcc, s[38:39], v[0:1]
	s_waitcnt lgkmcnt(0)
	v_cmp_gt_i32_e64 s[4:5], s3, v16
	v_cmp_gt_i32_e64 s[6:7], s15, v4
	;; [unrolled: 1-line block ×3, first 2 shown]
	s_cbranch_vccnz .LBB52_27
; %bb.10:
	s_load_dwordx4 s[20:23], s[0:1], 0x30
	s_load_dwordx4 s[24:27], s[0:1], 0x48
	v_mov_b32_e32 v0, 0x200
	v_lshl_add_u32 v14, v3, 2, v0
	v_mul_lo_u32 v0, s3, v3
	v_mov_b32_e32 v1, 0
	v_cmp_gt_i32_e32 vcc, s3, v3
	s_waitcnt lgkmcnt(0)
	v_lshl_add_u64 v[6:7], v[0:1], 1, s[22:23]
	v_lshlrev_b32_e32 v0, 1, v16
	s_and_b64 s[40:41], s[4:5], vcc
	v_lshl_add_u64 v[10:11], v[6:7], 0, v[0:1]
	v_mul_lo_u32 v0, s3, v16
	s_bitcmp1_b32 s12, 0
	v_lshl_add_u64 v[6:7], v[0:1], 1, s[22:23]
	v_lshlrev_b32_e32 v0, 1, v3
	v_ashrrev_i32_e32 v5, 31, v4
	s_cselect_b64 s[10:11], -1, 0
	v_lshlrev_b32_e32 v17, 5, v3
	s_cmp_eq_u32 s13, 0
	v_lshl_add_u64 v[12:13], v[6:7], 0, v[0:1]
	v_mul_lo_u32 v0, s27, v4
	v_mul_lo_u32 v3, s26, v5
	v_mad_u64_u32 v[6:7], s[12:13], s26, v4, 0
	v_add3_u32 v7, v7, v3, v0
	v_ashrrev_i32_e32 v3, 31, v2
	v_lshlrev_b32_e32 v15, 2, v16
	v_lshlrev_b32_e32 v21, 5, v16
	v_mul_lo_u32 v0, s27, v2
	v_mul_lo_u32 v18, s26, v3
	v_mad_u64_u32 v[8:9], s[12:13], s26, v2, 0
	s_cselect_b64 vcc, -1, 0
	s_mul_i32 s14, s3, s3
	v_add3_u32 v9, v9, v18, v0
	v_cndmask_b32_e32 v11, v11, v13, vcc
	v_cndmask_b32_e32 v10, v10, v12, vcc
	v_add_u32_e32 v18, 0x200, v21
	v_add_u32_e32 v19, 0x100, v17
	v_mov_b32_e32 v0, v1
	v_add_u32_e32 v20, v15, v17
	v_add_u32_e32 v21, v14, v21
	s_branch .LBB52_13
.LBB52_11:                              ;   in Loop: Header=BB52_13 Depth=1
	s_or_b64 exec, exec, s[22:23]
.LBB52_12:                              ;   in Loop: Header=BB52_13 Depth=1
	s_or_b64 exec, exec, s[12:13]
	s_add_u32 s38, s38, 1
	s_addc_u32 s39, s39, 0
	v_mov_b64_e32 v[12:13], s[34:35]
	v_cmp_ge_i64_e32 vcc, s[38:39], v[12:13]
	; wave barrier
	s_cbranch_vccnz .LBB52_28
.LBB52_13:                              ; =>This Loop Header: Depth=1
                                        ;     Child Loop BB52_23 Depth 2
                                        ;     Child Loop BB52_26 Depth 2
	s_and_saveexec_b64 s[12:13], s[4:5]
	s_cbranch_execz .LBB52_18
; %bb.14:                               ;   in Loop: Header=BB52_13 Depth=1
	s_lshl_b64 s[22:23], s[38:39], 2
	s_add_u32 s22, s20, s22
	s_addc_u32 s23, s21, s23
	s_load_dword s19, s[22:23], 0x0
	s_waitcnt lgkmcnt(0)
	s_sub_i32 s19, s19, s17
	s_mul_i32 s19, s19, s3
	v_add_u32_e32 v14, s19, v16
	v_ashrrev_i32_e32 v15, 31, v14
	v_mul_lo_u32 v22, s27, v14
	v_mad_u64_u32 v[12:13], s[22:23], s26, v14, 0
	v_mul_lo_u32 v23, s26, v15
	v_add3_u32 v13, v13, v23, v22
	v_lshl_add_u64 v[12:13], v[12:13], 1, s[24:25]
	v_lshl_add_u64 v[14:15], v[14:15], 1, s[24:25]
	s_and_saveexec_b64 s[22:23], s[6:7]
	s_cbranch_execz .LBB52_16
; %bb.15:                               ;   in Loop: Header=BB52_13 Depth=1
	v_lshl_add_u64 v[22:23], v[4:5], 1, v[12:13]
	v_lshl_add_u64 v[24:25], v[6:7], 1, v[14:15]
	v_cndmask_b32_e64 v23, v23, v25, s[10:11]
	v_cndmask_b32_e64 v22, v22, v24, s[10:11]
	global_load_ushort v22, v[22:23], off
	s_waitcnt vmcnt(0)
	v_cvt_f32_f16_e32 v22, v22
	ds_write_b32 v20, v22
.LBB52_16:                              ;   in Loop: Header=BB52_13 Depth=1
	s_or_b64 exec, exec, s[22:23]
	s_and_b64 exec, exec, s[8:9]
	s_cbranch_execz .LBB52_18
; %bb.17:                               ;   in Loop: Header=BB52_13 Depth=1
	v_lshl_add_u64 v[14:15], v[8:9], 1, v[14:15]
	v_lshl_add_u64 v[12:13], v[2:3], 1, v[12:13]
	v_cndmask_b32_e64 v13, v13, v15, s[10:11]
	v_cndmask_b32_e64 v12, v12, v14, s[10:11]
	global_load_ushort v12, v[12:13], off
	s_waitcnt vmcnt(0)
	v_cvt_f32_f16_e32 v12, v12
	ds_write_b32 v20, v12 offset:256
.LBB52_18:                              ;   in Loop: Header=BB52_13 Depth=1
	s_or_b64 exec, exec, s[12:13]
	s_and_saveexec_b64 s[12:13], s[40:41]
	s_cbranch_execz .LBB52_20
; %bb.19:                               ;   in Loop: Header=BB52_13 Depth=1
	s_mul_i32 s19, s39, s14
	s_mul_hi_u32 s22, s38, s14
	s_add_i32 s23, s22, s19
	s_mul_i32 s22, s38, s14
	v_lshl_add_u64 v[12:13], s[22:23], 1, v[10:11]
	global_load_ushort v12, v[12:13], off
	s_waitcnt vmcnt(0)
	v_cvt_f32_f16_e32 v12, v12
	ds_write_b32 v21, v12
.LBB52_20:                              ;   in Loop: Header=BB52_13 Depth=1
	s_or_b64 exec, exec, s[12:13]
	s_waitcnt lgkmcnt(0)
	; wave barrier
	s_and_saveexec_b64 s[12:13], s[4:5]
	s_cbranch_execz .LBB52_12
; %bb.21:                               ;   in Loop: Header=BB52_13 Depth=1
	s_and_saveexec_b64 s[22:23], s[6:7]
	s_cbranch_execz .LBB52_24
; %bb.22:                               ;   in Loop: Header=BB52_13 Depth=1
	v_mov_b32_e32 v12, v18
	v_mov_b32_e32 v13, v17
	s_mov_b32 s19, s3
.LBB52_23:                              ;   Parent Loop BB52_13 Depth=1
                                        ; =>  This Inner Loop Header: Depth=2
	ds_read_b32 v14, v12
	ds_read_b32 v15, v13
	s_add_i32 s19, s19, -1
	v_add_u32_e32 v13, 4, v13
	v_add_u32_e32 v12, 4, v12
	s_cmp_lg_u32 s19, 0
	s_waitcnt lgkmcnt(0)
	v_fma_f32 v0, v14, v15, v0
	s_cbranch_scc1 .LBB52_23
.LBB52_24:                              ;   in Loop: Header=BB52_13 Depth=1
	s_or_b64 exec, exec, s[22:23]
	s_and_saveexec_b64 s[22:23], s[8:9]
	s_cbranch_execz .LBB52_11
; %bb.25:                               ;   in Loop: Header=BB52_13 Depth=1
	v_mov_b32_e32 v12, v18
	s_mov_b32 s19, s3
	v_mov_b32_e32 v13, v19
.LBB52_26:                              ;   Parent Loop BB52_13 Depth=1
                                        ; =>  This Inner Loop Header: Depth=2
	ds_read_b32 v14, v12
	ds_read_b32 v15, v13
	s_add_i32 s19, s19, -1
	v_add_u32_e32 v13, 4, v13
	v_add_u32_e32 v12, 4, v12
	s_cmp_lg_u32 s19, 0
	s_waitcnt lgkmcnt(0)
	v_fma_f32 v1, v14, v15, v1
	s_cbranch_scc1 .LBB52_26
	s_branch .LBB52_11
.LBB52_27:
	v_mov_b32_e32 v0, 0
	v_mov_b32_e32 v1, v0
.LBB52_28:
	s_and_b64 s[4:5], s[30:31], s[4:5]
	s_and_saveexec_b64 s[6:7], s[4:5]
	s_cbranch_execz .LBB52_48
; %bb.29:
	s_mul_i32 s2, s3, s2
	v_add_u32_e32 v6, s2, v16
	s_load_dwordx2 s[2:3], s[0:1], 0x70
	v_ashrrev_i32_e32 v7, 31, v6
	s_cmp_lg_u32 s16, 1
	v_cmp_neq_f32_e64 s[0:1], s28, 0
	s_cselect_b64 s[4:5], -1, 0
	s_waitcnt lgkmcnt(0)
	v_mul_lo_u32 v3, s2, v7
	v_mul_lo_u32 v5, s3, v6
	v_mad_u64_u32 v[8:9], s[6:7], s2, v6, 0
	v_add3_u32 v9, v9, v3, v5
	v_lshl_add_u64 v[8:9], v[8:9], 2, s[36:37]
	v_lshl_add_u64 v[6:7], v[6:7], 2, s[36:37]
	v_cmp_gt_i32_e32 vcc, s15, v4
	s_and_saveexec_b64 s[6:7], vcc
	s_cbranch_execz .LBB52_41
; %bb.30:
	s_and_b64 vcc, exec, s[0:1]
	v_ashrrev_i32_e32 v5, 31, v4
	s_mov_b64 s[8:9], -1
	s_cbranch_vccz .LBB52_36
; %bb.31:
	s_and_b64 vcc, exec, s[4:5]
	s_cbranch_vccz .LBB52_33
; %bb.32:
	v_lshl_add_u64 v[10:11], v[4:5], 2, v[8:9]
	global_load_dword v3, v[10:11], off
	v_mul_f32_e32 v12, s18, v0
	s_mov_b64 s[8:9], 0
	s_waitcnt vmcnt(0)
	v_fmac_f32_e32 v12, s28, v3
	global_store_dword v[10:11], v12, off
.LBB52_33:
	s_andn2_b64 vcc, exec, s[8:9]
	s_cbranch_vccnz .LBB52_35
; %bb.34:
	v_mul_lo_u32 v3, s3, v4
	v_mul_lo_u32 v12, s2, v5
	v_mad_u64_u32 v[10:11], s[8:9], s2, v4, 0
	v_add3_u32 v11, v11, v12, v3
	v_lshl_add_u64 v[10:11], v[10:11], 2, v[6:7]
	global_load_dword v3, v[10:11], off
	v_mul_f32_e32 v12, s18, v0
	s_waitcnt vmcnt(0)
	v_fmac_f32_e32 v12, s28, v3
	global_store_dword v[10:11], v12, off
.LBB52_35:
	s_mov_b64 s[8:9], 0
.LBB52_36:
	s_andn2_b64 vcc, exec, s[8:9]
	s_cbranch_vccnz .LBB52_41
; %bb.37:
	v_mul_f32_e32 v0, s18, v0
	s_mov_b64 s[8:9], -1
	s_and_b64 vcc, exec, s[4:5]
	s_cbranch_vccz .LBB52_39
; %bb.38:
	v_lshl_add_u64 v[10:11], v[4:5], 2, v[8:9]
	global_store_dword v[10:11], v0, off
	s_mov_b64 s[8:9], 0
.LBB52_39:
	s_andn2_b64 vcc, exec, s[8:9]
	s_cbranch_vccnz .LBB52_41
; %bb.40:
	v_mul_lo_u32 v3, s3, v4
	v_mul_lo_u32 v10, s2, v5
	v_mad_u64_u32 v[4:5], s[8:9], s2, v4, 0
	v_add3_u32 v5, v5, v10, v3
	v_lshl_add_u64 v[4:5], v[4:5], 2, v[6:7]
	global_store_dword v[4:5], v0, off
.LBB52_41:
	s_or_b64 exec, exec, s[6:7]
	v_cmp_gt_i32_e32 vcc, s15, v2
	s_and_b64 exec, exec, vcc
	s_cbranch_execz .LBB52_48
; %bb.42:
	v_cndmask_b32_e64 v0, 0, 1, s[4:5]
	s_andn2_b64 vcc, exec, s[0:1]
	v_ashrrev_i32_e32 v3, 31, v2
	v_cmp_ne_u32_e64 s[0:1], 1, v0
	s_cbranch_vccnz .LBB52_49
; %bb.43:
	s_and_b64 vcc, exec, s[0:1]
	s_mov_b64 s[4:5], -1
	s_cbranch_vccnz .LBB52_45
; %bb.44:
	v_lshl_add_u64 v[4:5], v[2:3], 2, v[8:9]
	global_load_dword v0, v[4:5], off
	v_mul_f32_e32 v10, s18, v1
	s_mov_b64 s[4:5], 0
	s_waitcnt vmcnt(0)
	v_fmac_f32_e32 v10, s28, v0
	global_store_dword v[4:5], v10, off
.LBB52_45:
	s_andn2_b64 vcc, exec, s[4:5]
	s_cbranch_vccnz .LBB52_47
; %bb.46:
	v_mul_lo_u32 v0, s3, v2
	v_mul_lo_u32 v10, s2, v3
	v_mad_u64_u32 v[4:5], s[4:5], s2, v2, 0
	v_add3_u32 v5, v5, v10, v0
	v_lshl_add_u64 v[4:5], v[4:5], 2, v[6:7]
	global_load_dword v0, v[4:5], off
	v_mul_f32_e32 v10, s18, v1
	s_waitcnt vmcnt(0)
	v_fmac_f32_e32 v10, s28, v0
	global_store_dword v[4:5], v10, off
.LBB52_47:
	s_cbranch_execz .LBB52_50
.LBB52_48:
	s_endpgm
.LBB52_49:
.LBB52_50:
	v_mul_f32_e32 v0, s18, v1
	s_and_b64 vcc, exec, s[0:1]
	s_mov_b64 s[0:1], -1
	s_cbranch_vccnz .LBB52_52
; %bb.51:
	v_lshl_add_u64 v[4:5], v[2:3], 2, v[8:9]
	s_mov_b64 s[0:1], 0
	global_store_dword v[4:5], v0, off
.LBB52_52:
	s_andn2_b64 vcc, exec, s[0:1]
	s_cbranch_vccnz .LBB52_48
; %bb.53:
	v_mul_lo_u32 v1, s3, v2
	v_mul_lo_u32 v4, s2, v3
	v_mad_u64_u32 v[2:3], s[0:1], s2, v2, 0
	v_add3_u32 v3, v3, v4, v1
	v_lshl_add_u64 v[2:3], v[2:3], 2, v[6:7]
	global_store_dword v[2:3], v0, off
	s_endpgm
	.section	.rodata,"a",@progbits
	.p2align	6, 0x0
	.amdhsa_kernel _ZN9rocsparseL31bsrmm_large_blockdim_kernel_extILj8ELj8ELj2EliDF16_DF16_ffEEvb20rocsparse_direction_T3_S2_llNS_24const_host_device_scalarIT7_EEPKT2_PKS2_PKT4_S2_PKT5_llS5_PT6_ll16rocsparse_order_21rocsparse_index_base_b
		.amdhsa_group_segment_fixed_size 768
		.amdhsa_private_segment_fixed_size 0
		.amdhsa_kernarg_size 140
		.amdhsa_user_sgpr_count 2
		.amdhsa_user_sgpr_dispatch_ptr 0
		.amdhsa_user_sgpr_queue_ptr 0
		.amdhsa_user_sgpr_kernarg_segment_ptr 1
		.amdhsa_user_sgpr_dispatch_id 0
		.amdhsa_user_sgpr_kernarg_preload_length 0
		.amdhsa_user_sgpr_kernarg_preload_offset 0
		.amdhsa_user_sgpr_private_segment_size 0
		.amdhsa_uses_dynamic_stack 0
		.amdhsa_enable_private_segment 0
		.amdhsa_system_sgpr_workgroup_id_x 1
		.amdhsa_system_sgpr_workgroup_id_y 1
		.amdhsa_system_sgpr_workgroup_id_z 0
		.amdhsa_system_sgpr_workgroup_info 0
		.amdhsa_system_vgpr_workitem_id 1
		.amdhsa_next_free_vgpr 26
		.amdhsa_next_free_sgpr 42
		.amdhsa_accum_offset 28
		.amdhsa_reserve_vcc 1
		.amdhsa_float_round_mode_32 0
		.amdhsa_float_round_mode_16_64 0
		.amdhsa_float_denorm_mode_32 3
		.amdhsa_float_denorm_mode_16_64 3
		.amdhsa_dx10_clamp 1
		.amdhsa_ieee_mode 1
		.amdhsa_fp16_overflow 0
		.amdhsa_tg_split 0
		.amdhsa_exception_fp_ieee_invalid_op 0
		.amdhsa_exception_fp_denorm_src 0
		.amdhsa_exception_fp_ieee_div_zero 0
		.amdhsa_exception_fp_ieee_overflow 0
		.amdhsa_exception_fp_ieee_underflow 0
		.amdhsa_exception_fp_ieee_inexact 0
		.amdhsa_exception_int_div_zero 0
	.end_amdhsa_kernel
	.section	.text._ZN9rocsparseL31bsrmm_large_blockdim_kernel_extILj8ELj8ELj2EliDF16_DF16_ffEEvb20rocsparse_direction_T3_S2_llNS_24const_host_device_scalarIT7_EEPKT2_PKS2_PKT4_S2_PKT5_llS5_PT6_ll16rocsparse_order_21rocsparse_index_base_b,"axG",@progbits,_ZN9rocsparseL31bsrmm_large_blockdim_kernel_extILj8ELj8ELj2EliDF16_DF16_ffEEvb20rocsparse_direction_T3_S2_llNS_24const_host_device_scalarIT7_EEPKT2_PKS2_PKT4_S2_PKT5_llS5_PT6_ll16rocsparse_order_21rocsparse_index_base_b,comdat
.Lfunc_end52:
	.size	_ZN9rocsparseL31bsrmm_large_blockdim_kernel_extILj8ELj8ELj2EliDF16_DF16_ffEEvb20rocsparse_direction_T3_S2_llNS_24const_host_device_scalarIT7_EEPKT2_PKS2_PKT4_S2_PKT5_llS5_PT6_ll16rocsparse_order_21rocsparse_index_base_b, .Lfunc_end52-_ZN9rocsparseL31bsrmm_large_blockdim_kernel_extILj8ELj8ELj2EliDF16_DF16_ffEEvb20rocsparse_direction_T3_S2_llNS_24const_host_device_scalarIT7_EEPKT2_PKS2_PKT4_S2_PKT5_llS5_PT6_ll16rocsparse_order_21rocsparse_index_base_b
                                        ; -- End function
	.set _ZN9rocsparseL31bsrmm_large_blockdim_kernel_extILj8ELj8ELj2EliDF16_DF16_ffEEvb20rocsparse_direction_T3_S2_llNS_24const_host_device_scalarIT7_EEPKT2_PKS2_PKT4_S2_PKT5_llS5_PT6_ll16rocsparse_order_21rocsparse_index_base_b.num_vgpr, 26
	.set _ZN9rocsparseL31bsrmm_large_blockdim_kernel_extILj8ELj8ELj2EliDF16_DF16_ffEEvb20rocsparse_direction_T3_S2_llNS_24const_host_device_scalarIT7_EEPKT2_PKS2_PKT4_S2_PKT5_llS5_PT6_ll16rocsparse_order_21rocsparse_index_base_b.num_agpr, 0
	.set _ZN9rocsparseL31bsrmm_large_blockdim_kernel_extILj8ELj8ELj2EliDF16_DF16_ffEEvb20rocsparse_direction_T3_S2_llNS_24const_host_device_scalarIT7_EEPKT2_PKS2_PKT4_S2_PKT5_llS5_PT6_ll16rocsparse_order_21rocsparse_index_base_b.numbered_sgpr, 42
	.set _ZN9rocsparseL31bsrmm_large_blockdim_kernel_extILj8ELj8ELj2EliDF16_DF16_ffEEvb20rocsparse_direction_T3_S2_llNS_24const_host_device_scalarIT7_EEPKT2_PKS2_PKT4_S2_PKT5_llS5_PT6_ll16rocsparse_order_21rocsparse_index_base_b.num_named_barrier, 0
	.set _ZN9rocsparseL31bsrmm_large_blockdim_kernel_extILj8ELj8ELj2EliDF16_DF16_ffEEvb20rocsparse_direction_T3_S2_llNS_24const_host_device_scalarIT7_EEPKT2_PKS2_PKT4_S2_PKT5_llS5_PT6_ll16rocsparse_order_21rocsparse_index_base_b.private_seg_size, 0
	.set _ZN9rocsparseL31bsrmm_large_blockdim_kernel_extILj8ELj8ELj2EliDF16_DF16_ffEEvb20rocsparse_direction_T3_S2_llNS_24const_host_device_scalarIT7_EEPKT2_PKS2_PKT4_S2_PKT5_llS5_PT6_ll16rocsparse_order_21rocsparse_index_base_b.uses_vcc, 1
	.set _ZN9rocsparseL31bsrmm_large_blockdim_kernel_extILj8ELj8ELj2EliDF16_DF16_ffEEvb20rocsparse_direction_T3_S2_llNS_24const_host_device_scalarIT7_EEPKT2_PKS2_PKT4_S2_PKT5_llS5_PT6_ll16rocsparse_order_21rocsparse_index_base_b.uses_flat_scratch, 0
	.set _ZN9rocsparseL31bsrmm_large_blockdim_kernel_extILj8ELj8ELj2EliDF16_DF16_ffEEvb20rocsparse_direction_T3_S2_llNS_24const_host_device_scalarIT7_EEPKT2_PKS2_PKT4_S2_PKT5_llS5_PT6_ll16rocsparse_order_21rocsparse_index_base_b.has_dyn_sized_stack, 0
	.set _ZN9rocsparseL31bsrmm_large_blockdim_kernel_extILj8ELj8ELj2EliDF16_DF16_ffEEvb20rocsparse_direction_T3_S2_llNS_24const_host_device_scalarIT7_EEPKT2_PKS2_PKT4_S2_PKT5_llS5_PT6_ll16rocsparse_order_21rocsparse_index_base_b.has_recursion, 0
	.set _ZN9rocsparseL31bsrmm_large_blockdim_kernel_extILj8ELj8ELj2EliDF16_DF16_ffEEvb20rocsparse_direction_T3_S2_llNS_24const_host_device_scalarIT7_EEPKT2_PKS2_PKT4_S2_PKT5_llS5_PT6_ll16rocsparse_order_21rocsparse_index_base_b.has_indirect_call, 0
	.section	.AMDGPU.csdata,"",@progbits
; Kernel info:
; codeLenInByte = 1688
; TotalNumSgprs: 48
; NumVgprs: 26
; NumAgprs: 0
; TotalNumVgprs: 26
; ScratchSize: 0
; MemoryBound: 0
; FloatMode: 240
; IeeeMode: 1
; LDSByteSize: 768 bytes/workgroup (compile time only)
; SGPRBlocks: 5
; VGPRBlocks: 3
; NumSGPRsForWavesPerEU: 48
; NumVGPRsForWavesPerEU: 26
; AccumOffset: 28
; Occupancy: 8
; WaveLimiterHint : 1
; COMPUTE_PGM_RSRC2:SCRATCH_EN: 0
; COMPUTE_PGM_RSRC2:USER_SGPR: 2
; COMPUTE_PGM_RSRC2:TRAP_HANDLER: 0
; COMPUTE_PGM_RSRC2:TGID_X_EN: 1
; COMPUTE_PGM_RSRC2:TGID_Y_EN: 1
; COMPUTE_PGM_RSRC2:TGID_Z_EN: 0
; COMPUTE_PGM_RSRC2:TIDIG_COMP_CNT: 1
; COMPUTE_PGM_RSRC3_GFX90A:ACCUM_OFFSET: 6
; COMPUTE_PGM_RSRC3_GFX90A:TG_SPLIT: 0
	.section	.text._ZN9rocsparseL31bsrmm_large_blockdim_kernel_extILj4ELj16ELj2EliDF16_DF16_ffEEvb20rocsparse_direction_T3_S2_llNS_24const_host_device_scalarIT7_EEPKT2_PKS2_PKT4_S2_PKT5_llS5_PT6_ll16rocsparse_order_21rocsparse_index_base_b,"axG",@progbits,_ZN9rocsparseL31bsrmm_large_blockdim_kernel_extILj4ELj16ELj2EliDF16_DF16_ffEEvb20rocsparse_direction_T3_S2_llNS_24const_host_device_scalarIT7_EEPKT2_PKS2_PKT4_S2_PKT5_llS5_PT6_ll16rocsparse_order_21rocsparse_index_base_b,comdat
	.globl	_ZN9rocsparseL31bsrmm_large_blockdim_kernel_extILj4ELj16ELj2EliDF16_DF16_ffEEvb20rocsparse_direction_T3_S2_llNS_24const_host_device_scalarIT7_EEPKT2_PKS2_PKT4_S2_PKT5_llS5_PT6_ll16rocsparse_order_21rocsparse_index_base_b ; -- Begin function _ZN9rocsparseL31bsrmm_large_blockdim_kernel_extILj4ELj16ELj2EliDF16_DF16_ffEEvb20rocsparse_direction_T3_S2_llNS_24const_host_device_scalarIT7_EEPKT2_PKS2_PKT4_S2_PKT5_llS5_PT6_ll16rocsparse_order_21rocsparse_index_base_b
	.p2align	8
	.type	_ZN9rocsparseL31bsrmm_large_blockdim_kernel_extILj4ELj16ELj2EliDF16_DF16_ffEEvb20rocsparse_direction_T3_S2_llNS_24const_host_device_scalarIT7_EEPKT2_PKS2_PKT4_S2_PKT5_llS5_PT6_ll16rocsparse_order_21rocsparse_index_base_b,@function
_ZN9rocsparseL31bsrmm_large_blockdim_kernel_extILj4ELj16ELj2EliDF16_DF16_ffEEvb20rocsparse_direction_T3_S2_llNS_24const_host_device_scalarIT7_EEPKT2_PKS2_PKT4_S2_PKT5_llS5_PT6_ll16rocsparse_order_21rocsparse_index_base_b: ; @_ZN9rocsparseL31bsrmm_large_blockdim_kernel_extILj4ELj16ELj2EliDF16_DF16_ffEEvb20rocsparse_direction_T3_S2_llNS_24const_host_device_scalarIT7_EEPKT2_PKS2_PKT4_S2_PKT5_llS5_PT6_ll16rocsparse_order_21rocsparse_index_base_b
; %bb.0:
	s_load_dwordx4 s[16:19], s[0:1], 0x80
	s_mov_b32 s4, s3
	s_waitcnt lgkmcnt(0)
	s_bitcmp1_b32 s18, 0
	s_load_dwordx2 s[18:19], s[0:1], 0x20
	s_load_dwordx2 s[28:29], s[0:1], 0x60
	s_cselect_b64 s[8:9], -1, 0
	s_xor_b64 s[6:7], s[8:9], -1
	s_and_b64 vcc, exec, s[8:9]
	s_cbranch_vccnz .LBB53_2
; %bb.1:
	s_waitcnt lgkmcnt(0)
	s_load_dword s18, s[18:19], 0x0
.LBB53_2:
	s_andn2_b64 vcc, exec, s[6:7]
	s_cbranch_vccnz .LBB53_4
; %bb.3:
	s_waitcnt lgkmcnt(0)
	s_load_dword s28, s[28:29], 0x0
.LBB53_4:
	s_waitcnt lgkmcnt(0)
	v_cmp_eq_f32_e64 s[6:7], s18, 0
	v_cmp_eq_f32_e64 s[8:9], s28, 1.0
	s_and_b64 s[6:7], s[6:7], s[8:9]
	s_and_b64 vcc, exec, s[6:7]
	s_cbranch_vccnz .LBB53_48
; %bb.5:
	s_load_dwordx4 s[12:15], s[0:1], 0x0
	s_load_dwordx2 s[6:7], s[0:1], 0x28
	s_mov_b64 s[34:35], 0
	s_mov_b64 s[38:39], 0
	s_waitcnt lgkmcnt(0)
	s_cmp_lt_i32 s2, s14
	s_cselect_b64 s[30:31], -1, 0
	s_cmp_ge_i32 s2, s14
	s_cbranch_scc1 .LBB53_7
; %bb.6:
	s_ashr_i32 s3, s2, 31
	s_lshl_b64 s[8:9], s[2:3], 3
	s_add_u32 s8, s6, s8
	s_addc_u32 s9, s7, s9
	s_load_dwordx2 s[8:9], s[8:9], 0x0
	s_waitcnt lgkmcnt(0)
	s_sub_u32 s38, s8, s17
	s_subb_u32 s39, s9, 0
.LBB53_7:
	s_andn2_b64 vcc, exec, s[30:31]
	s_cbranch_vccnz .LBB53_9
; %bb.8:
	s_ashr_i32 s3, s2, 31
	s_lshl_b64 s[8:9], s[2:3], 3
	s_add_u32 s6, s6, s8
	s_addc_u32 s7, s7, s9
	s_load_dwordx2 s[6:7], s[6:7], 0x8
	s_waitcnt lgkmcnt(0)
	s_sub_u32 s34, s6, s17
	s_subb_u32 s35, s7, 0
.LBB53_9:
	s_load_dwordx2 s[36:37], s[0:1], 0x68
	s_load_dword s3, s[0:1], 0x40
	v_bfe_u32 v3, v0, 10, 10
	v_lshl_add_u32 v4, s4, 5, v3
	v_and_b32_e32 v16, 0x3ff, v0
	v_mov_b64_e32 v[0:1], s[34:35]
	v_add_u32_e32 v2, 16, v4
	v_cmp_ge_i64_e32 vcc, s[38:39], v[0:1]
	s_waitcnt lgkmcnt(0)
	v_cmp_gt_i32_e64 s[4:5], s3, v16
	v_cmp_gt_i32_e64 s[6:7], s15, v4
	v_cmp_gt_i32_e64 s[8:9], s15, v2
	s_cbranch_vccnz .LBB53_27
; %bb.10:
	s_load_dwordx4 s[20:23], s[0:1], 0x30
	s_load_dwordx4 s[24:27], s[0:1], 0x48
	v_mov_b32_e32 v0, 0x200
	v_lshl_add_u32 v14, v3, 2, v0
	v_mul_lo_u32 v0, s3, v3
	v_mov_b32_e32 v1, 0
	v_cmp_gt_i32_e32 vcc, s3, v3
	s_waitcnt lgkmcnt(0)
	v_lshl_add_u64 v[6:7], v[0:1], 1, s[22:23]
	v_lshlrev_b32_e32 v0, 1, v16
	s_and_b64 s[40:41], s[4:5], vcc
	v_lshl_add_u64 v[10:11], v[6:7], 0, v[0:1]
	v_mul_lo_u32 v0, s3, v16
	s_bitcmp1_b32 s12, 0
	v_lshl_add_u64 v[6:7], v[0:1], 1, s[22:23]
	v_lshlrev_b32_e32 v0, 1, v3
	v_ashrrev_i32_e32 v5, 31, v4
	s_cselect_b64 s[10:11], -1, 0
	v_lshlrev_b32_e32 v17, 4, v3
	s_cmp_eq_u32 s13, 0
	v_lshl_add_u64 v[12:13], v[6:7], 0, v[0:1]
	v_mul_lo_u32 v0, s27, v4
	v_mul_lo_u32 v3, s26, v5
	v_mad_u64_u32 v[6:7], s[12:13], s26, v4, 0
	v_add3_u32 v7, v7, v3, v0
	v_ashrrev_i32_e32 v3, 31, v2
	v_lshlrev_b32_e32 v15, 2, v16
	v_lshlrev_b32_e32 v21, 4, v16
	v_mul_lo_u32 v0, s27, v2
	v_mul_lo_u32 v18, s26, v3
	v_mad_u64_u32 v[8:9], s[12:13], s26, v2, 0
	s_cselect_b64 vcc, -1, 0
	s_mul_i32 s14, s3, s3
	v_add3_u32 v9, v9, v18, v0
	v_cndmask_b32_e32 v11, v11, v13, vcc
	v_cndmask_b32_e32 v10, v10, v12, vcc
	v_add_u32_e32 v18, 0x200, v21
	v_add_u32_e32 v19, 0x100, v17
	v_mov_b32_e32 v0, v1
	v_add_u32_e32 v20, v15, v17
	v_add_u32_e32 v21, v14, v21
	s_branch .LBB53_13
.LBB53_11:                              ;   in Loop: Header=BB53_13 Depth=1
	s_or_b64 exec, exec, s[22:23]
.LBB53_12:                              ;   in Loop: Header=BB53_13 Depth=1
	s_or_b64 exec, exec, s[12:13]
	s_add_u32 s38, s38, 1
	s_addc_u32 s39, s39, 0
	v_mov_b64_e32 v[12:13], s[34:35]
	v_cmp_ge_i64_e32 vcc, s[38:39], v[12:13]
	; wave barrier
	s_cbranch_vccnz .LBB53_28
.LBB53_13:                              ; =>This Loop Header: Depth=1
                                        ;     Child Loop BB53_23 Depth 2
                                        ;     Child Loop BB53_26 Depth 2
	s_and_saveexec_b64 s[12:13], s[4:5]
	s_cbranch_execz .LBB53_18
; %bb.14:                               ;   in Loop: Header=BB53_13 Depth=1
	s_lshl_b64 s[22:23], s[38:39], 2
	s_add_u32 s22, s20, s22
	s_addc_u32 s23, s21, s23
	s_load_dword s19, s[22:23], 0x0
	s_waitcnt lgkmcnt(0)
	s_sub_i32 s19, s19, s17
	s_mul_i32 s19, s19, s3
	v_add_u32_e32 v14, s19, v16
	v_ashrrev_i32_e32 v15, 31, v14
	v_mul_lo_u32 v22, s27, v14
	v_mad_u64_u32 v[12:13], s[22:23], s26, v14, 0
	v_mul_lo_u32 v23, s26, v15
	v_add3_u32 v13, v13, v23, v22
	v_lshl_add_u64 v[12:13], v[12:13], 1, s[24:25]
	v_lshl_add_u64 v[14:15], v[14:15], 1, s[24:25]
	s_and_saveexec_b64 s[22:23], s[6:7]
	s_cbranch_execz .LBB53_16
; %bb.15:                               ;   in Loop: Header=BB53_13 Depth=1
	v_lshl_add_u64 v[22:23], v[4:5], 1, v[12:13]
	v_lshl_add_u64 v[24:25], v[6:7], 1, v[14:15]
	v_cndmask_b32_e64 v23, v23, v25, s[10:11]
	v_cndmask_b32_e64 v22, v22, v24, s[10:11]
	global_load_ushort v22, v[22:23], off
	s_waitcnt vmcnt(0)
	v_cvt_f32_f16_e32 v22, v22
	ds_write_b32 v20, v22
.LBB53_16:                              ;   in Loop: Header=BB53_13 Depth=1
	s_or_b64 exec, exec, s[22:23]
	s_and_b64 exec, exec, s[8:9]
	s_cbranch_execz .LBB53_18
; %bb.17:                               ;   in Loop: Header=BB53_13 Depth=1
	v_lshl_add_u64 v[14:15], v[8:9], 1, v[14:15]
	v_lshl_add_u64 v[12:13], v[2:3], 1, v[12:13]
	v_cndmask_b32_e64 v13, v13, v15, s[10:11]
	v_cndmask_b32_e64 v12, v12, v14, s[10:11]
	global_load_ushort v12, v[12:13], off
	s_waitcnt vmcnt(0)
	v_cvt_f32_f16_e32 v12, v12
	ds_write_b32 v20, v12 offset:256
.LBB53_18:                              ;   in Loop: Header=BB53_13 Depth=1
	s_or_b64 exec, exec, s[12:13]
	s_and_saveexec_b64 s[12:13], s[40:41]
	s_cbranch_execz .LBB53_20
; %bb.19:                               ;   in Loop: Header=BB53_13 Depth=1
	s_mul_i32 s19, s39, s14
	s_mul_hi_u32 s22, s38, s14
	s_add_i32 s23, s22, s19
	s_mul_i32 s22, s38, s14
	v_lshl_add_u64 v[12:13], s[22:23], 1, v[10:11]
	global_load_ushort v12, v[12:13], off
	s_waitcnt vmcnt(0)
	v_cvt_f32_f16_e32 v12, v12
	ds_write_b32 v21, v12
.LBB53_20:                              ;   in Loop: Header=BB53_13 Depth=1
	s_or_b64 exec, exec, s[12:13]
	s_waitcnt lgkmcnt(0)
	; wave barrier
	s_and_saveexec_b64 s[12:13], s[4:5]
	s_cbranch_execz .LBB53_12
; %bb.21:                               ;   in Loop: Header=BB53_13 Depth=1
	s_and_saveexec_b64 s[22:23], s[6:7]
	s_cbranch_execz .LBB53_24
; %bb.22:                               ;   in Loop: Header=BB53_13 Depth=1
	v_mov_b32_e32 v12, v18
	v_mov_b32_e32 v13, v17
	s_mov_b32 s19, s3
.LBB53_23:                              ;   Parent Loop BB53_13 Depth=1
                                        ; =>  This Inner Loop Header: Depth=2
	ds_read_b32 v14, v12
	ds_read_b32 v15, v13
	s_add_i32 s19, s19, -1
	v_add_u32_e32 v13, 4, v13
	v_add_u32_e32 v12, 4, v12
	s_cmp_lg_u32 s19, 0
	s_waitcnt lgkmcnt(0)
	v_fma_f32 v0, v14, v15, v0
	s_cbranch_scc1 .LBB53_23
.LBB53_24:                              ;   in Loop: Header=BB53_13 Depth=1
	s_or_b64 exec, exec, s[22:23]
	s_and_saveexec_b64 s[22:23], s[8:9]
	s_cbranch_execz .LBB53_11
; %bb.25:                               ;   in Loop: Header=BB53_13 Depth=1
	v_mov_b32_e32 v12, v18
	s_mov_b32 s19, s3
	v_mov_b32_e32 v13, v19
.LBB53_26:                              ;   Parent Loop BB53_13 Depth=1
                                        ; =>  This Inner Loop Header: Depth=2
	ds_read_b32 v14, v12
	ds_read_b32 v15, v13
	s_add_i32 s19, s19, -1
	v_add_u32_e32 v13, 4, v13
	v_add_u32_e32 v12, 4, v12
	s_cmp_lg_u32 s19, 0
	s_waitcnt lgkmcnt(0)
	v_fma_f32 v1, v14, v15, v1
	s_cbranch_scc1 .LBB53_26
	s_branch .LBB53_11
.LBB53_27:
	v_mov_b32_e32 v0, 0
	v_mov_b32_e32 v1, v0
.LBB53_28:
	s_and_b64 s[4:5], s[30:31], s[4:5]
	s_and_saveexec_b64 s[6:7], s[4:5]
	s_cbranch_execz .LBB53_48
; %bb.29:
	s_mul_i32 s2, s3, s2
	v_add_u32_e32 v6, s2, v16
	s_load_dwordx2 s[2:3], s[0:1], 0x70
	v_ashrrev_i32_e32 v7, 31, v6
	s_cmp_lg_u32 s16, 1
	v_cmp_neq_f32_e64 s[0:1], s28, 0
	s_cselect_b64 s[4:5], -1, 0
	s_waitcnt lgkmcnt(0)
	v_mul_lo_u32 v3, s2, v7
	v_mul_lo_u32 v5, s3, v6
	v_mad_u64_u32 v[8:9], s[6:7], s2, v6, 0
	v_add3_u32 v9, v9, v3, v5
	v_lshl_add_u64 v[8:9], v[8:9], 2, s[36:37]
	v_lshl_add_u64 v[6:7], v[6:7], 2, s[36:37]
	v_cmp_gt_i32_e32 vcc, s15, v4
	s_and_saveexec_b64 s[6:7], vcc
	s_cbranch_execz .LBB53_41
; %bb.30:
	s_and_b64 vcc, exec, s[0:1]
	v_ashrrev_i32_e32 v5, 31, v4
	s_mov_b64 s[8:9], -1
	s_cbranch_vccz .LBB53_36
; %bb.31:
	s_and_b64 vcc, exec, s[4:5]
	s_cbranch_vccz .LBB53_33
; %bb.32:
	v_lshl_add_u64 v[10:11], v[4:5], 2, v[8:9]
	global_load_dword v3, v[10:11], off
	v_mul_f32_e32 v12, s18, v0
	s_mov_b64 s[8:9], 0
	s_waitcnt vmcnt(0)
	v_fmac_f32_e32 v12, s28, v3
	global_store_dword v[10:11], v12, off
.LBB53_33:
	s_andn2_b64 vcc, exec, s[8:9]
	s_cbranch_vccnz .LBB53_35
; %bb.34:
	v_mul_lo_u32 v3, s3, v4
	v_mul_lo_u32 v12, s2, v5
	v_mad_u64_u32 v[10:11], s[8:9], s2, v4, 0
	v_add3_u32 v11, v11, v12, v3
	v_lshl_add_u64 v[10:11], v[10:11], 2, v[6:7]
	global_load_dword v3, v[10:11], off
	v_mul_f32_e32 v12, s18, v0
	s_waitcnt vmcnt(0)
	v_fmac_f32_e32 v12, s28, v3
	global_store_dword v[10:11], v12, off
.LBB53_35:
	s_mov_b64 s[8:9], 0
.LBB53_36:
	s_andn2_b64 vcc, exec, s[8:9]
	s_cbranch_vccnz .LBB53_41
; %bb.37:
	v_mul_f32_e32 v0, s18, v0
	s_mov_b64 s[8:9], -1
	s_and_b64 vcc, exec, s[4:5]
	s_cbranch_vccz .LBB53_39
; %bb.38:
	v_lshl_add_u64 v[10:11], v[4:5], 2, v[8:9]
	global_store_dword v[10:11], v0, off
	s_mov_b64 s[8:9], 0
.LBB53_39:
	s_andn2_b64 vcc, exec, s[8:9]
	s_cbranch_vccnz .LBB53_41
; %bb.40:
	v_mul_lo_u32 v3, s3, v4
	v_mul_lo_u32 v10, s2, v5
	v_mad_u64_u32 v[4:5], s[8:9], s2, v4, 0
	v_add3_u32 v5, v5, v10, v3
	v_lshl_add_u64 v[4:5], v[4:5], 2, v[6:7]
	global_store_dword v[4:5], v0, off
.LBB53_41:
	s_or_b64 exec, exec, s[6:7]
	v_cmp_gt_i32_e32 vcc, s15, v2
	s_and_b64 exec, exec, vcc
	s_cbranch_execz .LBB53_48
; %bb.42:
	v_cndmask_b32_e64 v0, 0, 1, s[4:5]
	s_andn2_b64 vcc, exec, s[0:1]
	v_ashrrev_i32_e32 v3, 31, v2
	v_cmp_ne_u32_e64 s[0:1], 1, v0
	s_cbranch_vccnz .LBB53_49
; %bb.43:
	s_and_b64 vcc, exec, s[0:1]
	s_mov_b64 s[4:5], -1
	s_cbranch_vccnz .LBB53_45
; %bb.44:
	v_lshl_add_u64 v[4:5], v[2:3], 2, v[8:9]
	global_load_dword v0, v[4:5], off
	v_mul_f32_e32 v10, s18, v1
	s_mov_b64 s[4:5], 0
	s_waitcnt vmcnt(0)
	v_fmac_f32_e32 v10, s28, v0
	global_store_dword v[4:5], v10, off
.LBB53_45:
	s_andn2_b64 vcc, exec, s[4:5]
	s_cbranch_vccnz .LBB53_47
; %bb.46:
	v_mul_lo_u32 v0, s3, v2
	v_mul_lo_u32 v10, s2, v3
	v_mad_u64_u32 v[4:5], s[4:5], s2, v2, 0
	v_add3_u32 v5, v5, v10, v0
	v_lshl_add_u64 v[4:5], v[4:5], 2, v[6:7]
	global_load_dword v0, v[4:5], off
	v_mul_f32_e32 v10, s18, v1
	s_waitcnt vmcnt(0)
	v_fmac_f32_e32 v10, s28, v0
	global_store_dword v[4:5], v10, off
.LBB53_47:
	s_cbranch_execz .LBB53_50
.LBB53_48:
	s_endpgm
.LBB53_49:
.LBB53_50:
	v_mul_f32_e32 v0, s18, v1
	s_and_b64 vcc, exec, s[0:1]
	s_mov_b64 s[0:1], -1
	s_cbranch_vccnz .LBB53_52
; %bb.51:
	v_lshl_add_u64 v[4:5], v[2:3], 2, v[8:9]
	s_mov_b64 s[0:1], 0
	global_store_dword v[4:5], v0, off
.LBB53_52:
	s_andn2_b64 vcc, exec, s[0:1]
	s_cbranch_vccnz .LBB53_48
; %bb.53:
	v_mul_lo_u32 v1, s3, v2
	v_mul_lo_u32 v4, s2, v3
	v_mad_u64_u32 v[2:3], s[0:1], s2, v2, 0
	v_add3_u32 v3, v3, v4, v1
	v_lshl_add_u64 v[2:3], v[2:3], 2, v[6:7]
	global_store_dword v[2:3], v0, off
	s_endpgm
	.section	.rodata,"a",@progbits
	.p2align	6, 0x0
	.amdhsa_kernel _ZN9rocsparseL31bsrmm_large_blockdim_kernel_extILj4ELj16ELj2EliDF16_DF16_ffEEvb20rocsparse_direction_T3_S2_llNS_24const_host_device_scalarIT7_EEPKT2_PKS2_PKT4_S2_PKT5_llS5_PT6_ll16rocsparse_order_21rocsparse_index_base_b
		.amdhsa_group_segment_fixed_size 576
		.amdhsa_private_segment_fixed_size 0
		.amdhsa_kernarg_size 140
		.amdhsa_user_sgpr_count 2
		.amdhsa_user_sgpr_dispatch_ptr 0
		.amdhsa_user_sgpr_queue_ptr 0
		.amdhsa_user_sgpr_kernarg_segment_ptr 1
		.amdhsa_user_sgpr_dispatch_id 0
		.amdhsa_user_sgpr_kernarg_preload_length 0
		.amdhsa_user_sgpr_kernarg_preload_offset 0
		.amdhsa_user_sgpr_private_segment_size 0
		.amdhsa_uses_dynamic_stack 0
		.amdhsa_enable_private_segment 0
		.amdhsa_system_sgpr_workgroup_id_x 1
		.amdhsa_system_sgpr_workgroup_id_y 1
		.amdhsa_system_sgpr_workgroup_id_z 0
		.amdhsa_system_sgpr_workgroup_info 0
		.amdhsa_system_vgpr_workitem_id 1
		.amdhsa_next_free_vgpr 26
		.amdhsa_next_free_sgpr 42
		.amdhsa_accum_offset 28
		.amdhsa_reserve_vcc 1
		.amdhsa_float_round_mode_32 0
		.amdhsa_float_round_mode_16_64 0
		.amdhsa_float_denorm_mode_32 3
		.amdhsa_float_denorm_mode_16_64 3
		.amdhsa_dx10_clamp 1
		.amdhsa_ieee_mode 1
		.amdhsa_fp16_overflow 0
		.amdhsa_tg_split 0
		.amdhsa_exception_fp_ieee_invalid_op 0
		.amdhsa_exception_fp_denorm_src 0
		.amdhsa_exception_fp_ieee_div_zero 0
		.amdhsa_exception_fp_ieee_overflow 0
		.amdhsa_exception_fp_ieee_underflow 0
		.amdhsa_exception_fp_ieee_inexact 0
		.amdhsa_exception_int_div_zero 0
	.end_amdhsa_kernel
	.section	.text._ZN9rocsparseL31bsrmm_large_blockdim_kernel_extILj4ELj16ELj2EliDF16_DF16_ffEEvb20rocsparse_direction_T3_S2_llNS_24const_host_device_scalarIT7_EEPKT2_PKS2_PKT4_S2_PKT5_llS5_PT6_ll16rocsparse_order_21rocsparse_index_base_b,"axG",@progbits,_ZN9rocsparseL31bsrmm_large_blockdim_kernel_extILj4ELj16ELj2EliDF16_DF16_ffEEvb20rocsparse_direction_T3_S2_llNS_24const_host_device_scalarIT7_EEPKT2_PKS2_PKT4_S2_PKT5_llS5_PT6_ll16rocsparse_order_21rocsparse_index_base_b,comdat
.Lfunc_end53:
	.size	_ZN9rocsparseL31bsrmm_large_blockdim_kernel_extILj4ELj16ELj2EliDF16_DF16_ffEEvb20rocsparse_direction_T3_S2_llNS_24const_host_device_scalarIT7_EEPKT2_PKS2_PKT4_S2_PKT5_llS5_PT6_ll16rocsparse_order_21rocsparse_index_base_b, .Lfunc_end53-_ZN9rocsparseL31bsrmm_large_blockdim_kernel_extILj4ELj16ELj2EliDF16_DF16_ffEEvb20rocsparse_direction_T3_S2_llNS_24const_host_device_scalarIT7_EEPKT2_PKS2_PKT4_S2_PKT5_llS5_PT6_ll16rocsparse_order_21rocsparse_index_base_b
                                        ; -- End function
	.set _ZN9rocsparseL31bsrmm_large_blockdim_kernel_extILj4ELj16ELj2EliDF16_DF16_ffEEvb20rocsparse_direction_T3_S2_llNS_24const_host_device_scalarIT7_EEPKT2_PKS2_PKT4_S2_PKT5_llS5_PT6_ll16rocsparse_order_21rocsparse_index_base_b.num_vgpr, 26
	.set _ZN9rocsparseL31bsrmm_large_blockdim_kernel_extILj4ELj16ELj2EliDF16_DF16_ffEEvb20rocsparse_direction_T3_S2_llNS_24const_host_device_scalarIT7_EEPKT2_PKS2_PKT4_S2_PKT5_llS5_PT6_ll16rocsparse_order_21rocsparse_index_base_b.num_agpr, 0
	.set _ZN9rocsparseL31bsrmm_large_blockdim_kernel_extILj4ELj16ELj2EliDF16_DF16_ffEEvb20rocsparse_direction_T3_S2_llNS_24const_host_device_scalarIT7_EEPKT2_PKS2_PKT4_S2_PKT5_llS5_PT6_ll16rocsparse_order_21rocsparse_index_base_b.numbered_sgpr, 42
	.set _ZN9rocsparseL31bsrmm_large_blockdim_kernel_extILj4ELj16ELj2EliDF16_DF16_ffEEvb20rocsparse_direction_T3_S2_llNS_24const_host_device_scalarIT7_EEPKT2_PKS2_PKT4_S2_PKT5_llS5_PT6_ll16rocsparse_order_21rocsparse_index_base_b.num_named_barrier, 0
	.set _ZN9rocsparseL31bsrmm_large_blockdim_kernel_extILj4ELj16ELj2EliDF16_DF16_ffEEvb20rocsparse_direction_T3_S2_llNS_24const_host_device_scalarIT7_EEPKT2_PKS2_PKT4_S2_PKT5_llS5_PT6_ll16rocsparse_order_21rocsparse_index_base_b.private_seg_size, 0
	.set _ZN9rocsparseL31bsrmm_large_blockdim_kernel_extILj4ELj16ELj2EliDF16_DF16_ffEEvb20rocsparse_direction_T3_S2_llNS_24const_host_device_scalarIT7_EEPKT2_PKS2_PKT4_S2_PKT5_llS5_PT6_ll16rocsparse_order_21rocsparse_index_base_b.uses_vcc, 1
	.set _ZN9rocsparseL31bsrmm_large_blockdim_kernel_extILj4ELj16ELj2EliDF16_DF16_ffEEvb20rocsparse_direction_T3_S2_llNS_24const_host_device_scalarIT7_EEPKT2_PKS2_PKT4_S2_PKT5_llS5_PT6_ll16rocsparse_order_21rocsparse_index_base_b.uses_flat_scratch, 0
	.set _ZN9rocsparseL31bsrmm_large_blockdim_kernel_extILj4ELj16ELj2EliDF16_DF16_ffEEvb20rocsparse_direction_T3_S2_llNS_24const_host_device_scalarIT7_EEPKT2_PKS2_PKT4_S2_PKT5_llS5_PT6_ll16rocsparse_order_21rocsparse_index_base_b.has_dyn_sized_stack, 0
	.set _ZN9rocsparseL31bsrmm_large_blockdim_kernel_extILj4ELj16ELj2EliDF16_DF16_ffEEvb20rocsparse_direction_T3_S2_llNS_24const_host_device_scalarIT7_EEPKT2_PKS2_PKT4_S2_PKT5_llS5_PT6_ll16rocsparse_order_21rocsparse_index_base_b.has_recursion, 0
	.set _ZN9rocsparseL31bsrmm_large_blockdim_kernel_extILj4ELj16ELj2EliDF16_DF16_ffEEvb20rocsparse_direction_T3_S2_llNS_24const_host_device_scalarIT7_EEPKT2_PKS2_PKT4_S2_PKT5_llS5_PT6_ll16rocsparse_order_21rocsparse_index_base_b.has_indirect_call, 0
	.section	.AMDGPU.csdata,"",@progbits
; Kernel info:
; codeLenInByte = 1688
; TotalNumSgprs: 48
; NumVgprs: 26
; NumAgprs: 0
; TotalNumVgprs: 26
; ScratchSize: 0
; MemoryBound: 0
; FloatMode: 240
; IeeeMode: 1
; LDSByteSize: 576 bytes/workgroup (compile time only)
; SGPRBlocks: 5
; VGPRBlocks: 3
; NumSGPRsForWavesPerEU: 48
; NumVGPRsForWavesPerEU: 26
; AccumOffset: 28
; Occupancy: 8
; WaveLimiterHint : 1
; COMPUTE_PGM_RSRC2:SCRATCH_EN: 0
; COMPUTE_PGM_RSRC2:USER_SGPR: 2
; COMPUTE_PGM_RSRC2:TRAP_HANDLER: 0
; COMPUTE_PGM_RSRC2:TGID_X_EN: 1
; COMPUTE_PGM_RSRC2:TGID_Y_EN: 1
; COMPUTE_PGM_RSRC2:TGID_Z_EN: 0
; COMPUTE_PGM_RSRC2:TIDIG_COMP_CNT: 1
; COMPUTE_PGM_RSRC3_GFX90A:ACCUM_OFFSET: 6
; COMPUTE_PGM_RSRC3_GFX90A:TG_SPLIT: 0
	.section	.text._ZN9rocsparseL31bsrmm_large_blockdim_kernel_extILj16ELj16ELj2EliDF16_DF16_ffEEvb20rocsparse_direction_T3_S2_llNS_24const_host_device_scalarIT7_EEPKT2_PKS2_PKT4_S2_PKT5_llS5_PT6_ll16rocsparse_order_21rocsparse_index_base_b,"axG",@progbits,_ZN9rocsparseL31bsrmm_large_blockdim_kernel_extILj16ELj16ELj2EliDF16_DF16_ffEEvb20rocsparse_direction_T3_S2_llNS_24const_host_device_scalarIT7_EEPKT2_PKS2_PKT4_S2_PKT5_llS5_PT6_ll16rocsparse_order_21rocsparse_index_base_b,comdat
	.globl	_ZN9rocsparseL31bsrmm_large_blockdim_kernel_extILj16ELj16ELj2EliDF16_DF16_ffEEvb20rocsparse_direction_T3_S2_llNS_24const_host_device_scalarIT7_EEPKT2_PKS2_PKT4_S2_PKT5_llS5_PT6_ll16rocsparse_order_21rocsparse_index_base_b ; -- Begin function _ZN9rocsparseL31bsrmm_large_blockdim_kernel_extILj16ELj16ELj2EliDF16_DF16_ffEEvb20rocsparse_direction_T3_S2_llNS_24const_host_device_scalarIT7_EEPKT2_PKS2_PKT4_S2_PKT5_llS5_PT6_ll16rocsparse_order_21rocsparse_index_base_b
	.p2align	8
	.type	_ZN9rocsparseL31bsrmm_large_blockdim_kernel_extILj16ELj16ELj2EliDF16_DF16_ffEEvb20rocsparse_direction_T3_S2_llNS_24const_host_device_scalarIT7_EEPKT2_PKS2_PKT4_S2_PKT5_llS5_PT6_ll16rocsparse_order_21rocsparse_index_base_b,@function
_ZN9rocsparseL31bsrmm_large_blockdim_kernel_extILj16ELj16ELj2EliDF16_DF16_ffEEvb20rocsparse_direction_T3_S2_llNS_24const_host_device_scalarIT7_EEPKT2_PKS2_PKT4_S2_PKT5_llS5_PT6_ll16rocsparse_order_21rocsparse_index_base_b: ; @_ZN9rocsparseL31bsrmm_large_blockdim_kernel_extILj16ELj16ELj2EliDF16_DF16_ffEEvb20rocsparse_direction_T3_S2_llNS_24const_host_device_scalarIT7_EEPKT2_PKS2_PKT4_S2_PKT5_llS5_PT6_ll16rocsparse_order_21rocsparse_index_base_b
; %bb.0:
	s_load_dwordx4 s[16:19], s[0:1], 0x80
	s_mov_b32 s4, s3
	s_waitcnt lgkmcnt(0)
	s_bitcmp1_b32 s18, 0
	s_load_dwordx2 s[18:19], s[0:1], 0x20
	s_load_dwordx2 s[28:29], s[0:1], 0x60
	s_cselect_b64 s[8:9], -1, 0
	s_xor_b64 s[6:7], s[8:9], -1
	s_and_b64 vcc, exec, s[8:9]
	s_cbranch_vccnz .LBB54_2
; %bb.1:
	s_waitcnt lgkmcnt(0)
	s_load_dword s18, s[18:19], 0x0
.LBB54_2:
	s_andn2_b64 vcc, exec, s[6:7]
	s_cbranch_vccnz .LBB54_4
; %bb.3:
	s_waitcnt lgkmcnt(0)
	s_load_dword s28, s[28:29], 0x0
.LBB54_4:
	s_waitcnt lgkmcnt(0)
	v_cmp_eq_f32_e64 s[6:7], s18, 0
	v_cmp_eq_f32_e64 s[8:9], s28, 1.0
	s_and_b64 s[6:7], s[6:7], s[8:9]
	s_and_b64 vcc, exec, s[6:7]
	s_cbranch_vccnz .LBB54_48
; %bb.5:
	s_load_dwordx4 s[12:15], s[0:1], 0x0
	s_load_dwordx2 s[6:7], s[0:1], 0x28
	s_mov_b64 s[34:35], 0
	s_mov_b64 s[38:39], 0
	s_waitcnt lgkmcnt(0)
	s_cmp_lt_i32 s2, s14
	s_cselect_b64 s[30:31], -1, 0
	s_cmp_ge_i32 s2, s14
	s_cbranch_scc1 .LBB54_7
; %bb.6:
	s_ashr_i32 s3, s2, 31
	s_lshl_b64 s[8:9], s[2:3], 3
	s_add_u32 s8, s6, s8
	s_addc_u32 s9, s7, s9
	s_load_dwordx2 s[8:9], s[8:9], 0x0
	s_waitcnt lgkmcnt(0)
	s_sub_u32 s38, s8, s17
	s_subb_u32 s39, s9, 0
.LBB54_7:
	s_andn2_b64 vcc, exec, s[30:31]
	s_cbranch_vccnz .LBB54_9
; %bb.8:
	s_ashr_i32 s3, s2, 31
	s_lshl_b64 s[8:9], s[2:3], 3
	s_add_u32 s6, s6, s8
	s_addc_u32 s7, s7, s9
	s_load_dwordx2 s[6:7], s[6:7], 0x8
	s_waitcnt lgkmcnt(0)
	s_sub_u32 s34, s6, s17
	s_subb_u32 s35, s7, 0
.LBB54_9:
	s_load_dwordx2 s[36:37], s[0:1], 0x68
	s_load_dword s3, s[0:1], 0x40
	v_bfe_u32 v3, v0, 10, 10
	v_lshl_add_u32 v4, s4, 5, v3
	v_and_b32_e32 v16, 0x3ff, v0
	v_mov_b64_e32 v[0:1], s[34:35]
	v_add_u32_e32 v2, 16, v4
	v_cmp_ge_i64_e32 vcc, s[38:39], v[0:1]
	s_waitcnt lgkmcnt(0)
	v_cmp_gt_i32_e64 s[4:5], s3, v16
	v_cmp_gt_i32_e64 s[6:7], s15, v4
	;; [unrolled: 1-line block ×3, first 2 shown]
	s_cbranch_vccnz .LBB54_27
; %bb.10:
	s_load_dwordx4 s[20:23], s[0:1], 0x30
	s_load_dwordx4 s[24:27], s[0:1], 0x48
	v_mov_b32_e32 v0, 0x800
	v_lshl_add_u32 v14, v3, 2, v0
	v_mul_lo_u32 v0, s3, v3
	v_mov_b32_e32 v1, 0
	v_cmp_gt_i32_e32 vcc, s3, v3
	s_waitcnt lgkmcnt(0)
	v_lshl_add_u64 v[6:7], v[0:1], 1, s[22:23]
	v_lshlrev_b32_e32 v0, 1, v16
	s_and_b64 s[40:41], s[4:5], vcc
	v_lshl_add_u64 v[10:11], v[6:7], 0, v[0:1]
	v_mul_lo_u32 v0, s3, v16
	s_bitcmp1_b32 s12, 0
	v_lshl_add_u64 v[6:7], v[0:1], 1, s[22:23]
	v_lshlrev_b32_e32 v0, 1, v3
	v_ashrrev_i32_e32 v5, 31, v4
	s_cselect_b64 s[10:11], -1, 0
	v_lshlrev_b32_e32 v17, 6, v3
	s_cmp_eq_u32 s13, 0
	v_lshl_add_u64 v[12:13], v[6:7], 0, v[0:1]
	v_mul_lo_u32 v0, s27, v4
	v_mul_lo_u32 v3, s26, v5
	v_mad_u64_u32 v[6:7], s[12:13], s26, v4, 0
	v_add3_u32 v7, v7, v3, v0
	v_ashrrev_i32_e32 v3, 31, v2
	v_lshlrev_b32_e32 v15, 2, v16
	v_lshlrev_b32_e32 v21, 6, v16
	v_mul_lo_u32 v0, s27, v2
	v_mul_lo_u32 v18, s26, v3
	v_mad_u64_u32 v[8:9], s[12:13], s26, v2, 0
	s_cselect_b64 vcc, -1, 0
	s_mul_i32 s14, s3, s3
	v_add3_u32 v9, v9, v18, v0
	v_cndmask_b32_e32 v11, v11, v13, vcc
	v_cndmask_b32_e32 v10, v10, v12, vcc
	v_add_u32_e32 v18, 0x800, v21
	v_add_u32_e32 v19, 0x400, v17
	v_mov_b32_e32 v0, v1
	v_add_u32_e32 v20, v15, v17
	v_add_u32_e32 v21, v14, v21
	s_branch .LBB54_13
.LBB54_11:                              ;   in Loop: Header=BB54_13 Depth=1
	s_or_b64 exec, exec, s[22:23]
.LBB54_12:                              ;   in Loop: Header=BB54_13 Depth=1
	s_or_b64 exec, exec, s[12:13]
	s_add_u32 s38, s38, 1
	s_addc_u32 s39, s39, 0
	v_mov_b64_e32 v[12:13], s[34:35]
	v_cmp_ge_i64_e32 vcc, s[38:39], v[12:13]
	s_barrier
	s_cbranch_vccnz .LBB54_28
.LBB54_13:                              ; =>This Loop Header: Depth=1
                                        ;     Child Loop BB54_23 Depth 2
                                        ;     Child Loop BB54_26 Depth 2
	s_and_saveexec_b64 s[12:13], s[4:5]
	s_cbranch_execz .LBB54_18
; %bb.14:                               ;   in Loop: Header=BB54_13 Depth=1
	s_lshl_b64 s[22:23], s[38:39], 2
	s_add_u32 s22, s20, s22
	s_addc_u32 s23, s21, s23
	s_load_dword s19, s[22:23], 0x0
	s_waitcnt lgkmcnt(0)
	s_sub_i32 s19, s19, s17
	s_mul_i32 s19, s19, s3
	v_add_u32_e32 v14, s19, v16
	v_ashrrev_i32_e32 v15, 31, v14
	v_mul_lo_u32 v22, s27, v14
	v_mad_u64_u32 v[12:13], s[22:23], s26, v14, 0
	v_mul_lo_u32 v23, s26, v15
	v_add3_u32 v13, v13, v23, v22
	v_lshl_add_u64 v[12:13], v[12:13], 1, s[24:25]
	v_lshl_add_u64 v[14:15], v[14:15], 1, s[24:25]
	s_and_saveexec_b64 s[22:23], s[6:7]
	s_cbranch_execz .LBB54_16
; %bb.15:                               ;   in Loop: Header=BB54_13 Depth=1
	v_lshl_add_u64 v[22:23], v[4:5], 1, v[12:13]
	v_lshl_add_u64 v[24:25], v[6:7], 1, v[14:15]
	v_cndmask_b32_e64 v23, v23, v25, s[10:11]
	v_cndmask_b32_e64 v22, v22, v24, s[10:11]
	global_load_ushort v22, v[22:23], off
	s_waitcnt vmcnt(0)
	v_cvt_f32_f16_e32 v22, v22
	ds_write_b32 v20, v22
.LBB54_16:                              ;   in Loop: Header=BB54_13 Depth=1
	s_or_b64 exec, exec, s[22:23]
	s_and_b64 exec, exec, s[8:9]
	s_cbranch_execz .LBB54_18
; %bb.17:                               ;   in Loop: Header=BB54_13 Depth=1
	v_lshl_add_u64 v[14:15], v[8:9], 1, v[14:15]
	v_lshl_add_u64 v[12:13], v[2:3], 1, v[12:13]
	v_cndmask_b32_e64 v13, v13, v15, s[10:11]
	v_cndmask_b32_e64 v12, v12, v14, s[10:11]
	global_load_ushort v12, v[12:13], off
	s_waitcnt vmcnt(0)
	v_cvt_f32_f16_e32 v12, v12
	ds_write_b32 v20, v12 offset:1024
.LBB54_18:                              ;   in Loop: Header=BB54_13 Depth=1
	s_or_b64 exec, exec, s[12:13]
	s_and_saveexec_b64 s[12:13], s[40:41]
	s_cbranch_execz .LBB54_20
; %bb.19:                               ;   in Loop: Header=BB54_13 Depth=1
	s_mul_i32 s19, s39, s14
	s_mul_hi_u32 s22, s38, s14
	s_add_i32 s23, s22, s19
	s_mul_i32 s22, s38, s14
	v_lshl_add_u64 v[12:13], s[22:23], 1, v[10:11]
	global_load_ushort v12, v[12:13], off
	s_waitcnt vmcnt(0)
	v_cvt_f32_f16_e32 v12, v12
	ds_write_b32 v21, v12
.LBB54_20:                              ;   in Loop: Header=BB54_13 Depth=1
	s_or_b64 exec, exec, s[12:13]
	s_waitcnt lgkmcnt(0)
	s_barrier
	s_and_saveexec_b64 s[12:13], s[4:5]
	s_cbranch_execz .LBB54_12
; %bb.21:                               ;   in Loop: Header=BB54_13 Depth=1
	s_and_saveexec_b64 s[22:23], s[6:7]
	s_cbranch_execz .LBB54_24
; %bb.22:                               ;   in Loop: Header=BB54_13 Depth=1
	v_mov_b32_e32 v12, v18
	v_mov_b32_e32 v13, v17
	s_mov_b32 s19, s3
.LBB54_23:                              ;   Parent Loop BB54_13 Depth=1
                                        ; =>  This Inner Loop Header: Depth=2
	ds_read_b32 v14, v12
	ds_read_b32 v15, v13
	s_add_i32 s19, s19, -1
	v_add_u32_e32 v13, 4, v13
	v_add_u32_e32 v12, 4, v12
	s_cmp_lg_u32 s19, 0
	s_waitcnt lgkmcnt(0)
	v_fma_f32 v0, v14, v15, v0
	s_cbranch_scc1 .LBB54_23
.LBB54_24:                              ;   in Loop: Header=BB54_13 Depth=1
	s_or_b64 exec, exec, s[22:23]
	s_and_saveexec_b64 s[22:23], s[8:9]
	s_cbranch_execz .LBB54_11
; %bb.25:                               ;   in Loop: Header=BB54_13 Depth=1
	v_mov_b32_e32 v12, v18
	s_mov_b32 s19, s3
	v_mov_b32_e32 v13, v19
.LBB54_26:                              ;   Parent Loop BB54_13 Depth=1
                                        ; =>  This Inner Loop Header: Depth=2
	ds_read_b32 v14, v12
	ds_read_b32 v15, v13
	s_add_i32 s19, s19, -1
	v_add_u32_e32 v13, 4, v13
	v_add_u32_e32 v12, 4, v12
	s_cmp_lg_u32 s19, 0
	s_waitcnt lgkmcnt(0)
	v_fma_f32 v1, v14, v15, v1
	s_cbranch_scc1 .LBB54_26
	s_branch .LBB54_11
.LBB54_27:
	v_mov_b32_e32 v0, 0
	v_mov_b32_e32 v1, v0
.LBB54_28:
	s_and_b64 s[4:5], s[30:31], s[4:5]
	s_and_saveexec_b64 s[6:7], s[4:5]
	s_cbranch_execz .LBB54_48
; %bb.29:
	s_mul_i32 s2, s3, s2
	v_add_u32_e32 v6, s2, v16
	s_load_dwordx2 s[2:3], s[0:1], 0x70
	v_ashrrev_i32_e32 v7, 31, v6
	s_cmp_lg_u32 s16, 1
	v_cmp_neq_f32_e64 s[0:1], s28, 0
	s_cselect_b64 s[4:5], -1, 0
	s_waitcnt lgkmcnt(0)
	v_mul_lo_u32 v3, s2, v7
	v_mul_lo_u32 v5, s3, v6
	v_mad_u64_u32 v[8:9], s[6:7], s2, v6, 0
	v_add3_u32 v9, v9, v3, v5
	v_lshl_add_u64 v[8:9], v[8:9], 2, s[36:37]
	v_lshl_add_u64 v[6:7], v[6:7], 2, s[36:37]
	v_cmp_gt_i32_e32 vcc, s15, v4
	s_and_saveexec_b64 s[6:7], vcc
	s_cbranch_execz .LBB54_41
; %bb.30:
	s_and_b64 vcc, exec, s[0:1]
	v_ashrrev_i32_e32 v5, 31, v4
	s_mov_b64 s[8:9], -1
	s_cbranch_vccz .LBB54_36
; %bb.31:
	s_and_b64 vcc, exec, s[4:5]
	s_cbranch_vccz .LBB54_33
; %bb.32:
	v_lshl_add_u64 v[10:11], v[4:5], 2, v[8:9]
	global_load_dword v3, v[10:11], off
	v_mul_f32_e32 v12, s18, v0
	s_mov_b64 s[8:9], 0
	s_waitcnt vmcnt(0)
	v_fmac_f32_e32 v12, s28, v3
	global_store_dword v[10:11], v12, off
.LBB54_33:
	s_andn2_b64 vcc, exec, s[8:9]
	s_cbranch_vccnz .LBB54_35
; %bb.34:
	v_mul_lo_u32 v3, s3, v4
	v_mul_lo_u32 v12, s2, v5
	v_mad_u64_u32 v[10:11], s[8:9], s2, v4, 0
	v_add3_u32 v11, v11, v12, v3
	v_lshl_add_u64 v[10:11], v[10:11], 2, v[6:7]
	global_load_dword v3, v[10:11], off
	v_mul_f32_e32 v12, s18, v0
	s_waitcnt vmcnt(0)
	v_fmac_f32_e32 v12, s28, v3
	global_store_dword v[10:11], v12, off
.LBB54_35:
	s_mov_b64 s[8:9], 0
.LBB54_36:
	s_andn2_b64 vcc, exec, s[8:9]
	s_cbranch_vccnz .LBB54_41
; %bb.37:
	v_mul_f32_e32 v0, s18, v0
	s_mov_b64 s[8:9], -1
	s_and_b64 vcc, exec, s[4:5]
	s_cbranch_vccz .LBB54_39
; %bb.38:
	v_lshl_add_u64 v[10:11], v[4:5], 2, v[8:9]
	global_store_dword v[10:11], v0, off
	s_mov_b64 s[8:9], 0
.LBB54_39:
	s_andn2_b64 vcc, exec, s[8:9]
	s_cbranch_vccnz .LBB54_41
; %bb.40:
	v_mul_lo_u32 v3, s3, v4
	v_mul_lo_u32 v10, s2, v5
	v_mad_u64_u32 v[4:5], s[8:9], s2, v4, 0
	v_add3_u32 v5, v5, v10, v3
	v_lshl_add_u64 v[4:5], v[4:5], 2, v[6:7]
	global_store_dword v[4:5], v0, off
.LBB54_41:
	s_or_b64 exec, exec, s[6:7]
	v_cmp_gt_i32_e32 vcc, s15, v2
	s_and_b64 exec, exec, vcc
	s_cbranch_execz .LBB54_48
; %bb.42:
	v_cndmask_b32_e64 v0, 0, 1, s[4:5]
	s_andn2_b64 vcc, exec, s[0:1]
	v_ashrrev_i32_e32 v3, 31, v2
	v_cmp_ne_u32_e64 s[0:1], 1, v0
	s_cbranch_vccnz .LBB54_49
; %bb.43:
	s_and_b64 vcc, exec, s[0:1]
	s_mov_b64 s[4:5], -1
	s_cbranch_vccnz .LBB54_45
; %bb.44:
	v_lshl_add_u64 v[4:5], v[2:3], 2, v[8:9]
	global_load_dword v0, v[4:5], off
	v_mul_f32_e32 v10, s18, v1
	s_mov_b64 s[4:5], 0
	s_waitcnt vmcnt(0)
	v_fmac_f32_e32 v10, s28, v0
	global_store_dword v[4:5], v10, off
.LBB54_45:
	s_andn2_b64 vcc, exec, s[4:5]
	s_cbranch_vccnz .LBB54_47
; %bb.46:
	v_mul_lo_u32 v0, s3, v2
	v_mul_lo_u32 v10, s2, v3
	v_mad_u64_u32 v[4:5], s[4:5], s2, v2, 0
	v_add3_u32 v5, v5, v10, v0
	v_lshl_add_u64 v[4:5], v[4:5], 2, v[6:7]
	global_load_dword v0, v[4:5], off
	v_mul_f32_e32 v10, s18, v1
	s_waitcnt vmcnt(0)
	v_fmac_f32_e32 v10, s28, v0
	global_store_dword v[4:5], v10, off
.LBB54_47:
	s_cbranch_execz .LBB54_50
.LBB54_48:
	s_endpgm
.LBB54_49:
.LBB54_50:
	v_mul_f32_e32 v0, s18, v1
	s_and_b64 vcc, exec, s[0:1]
	s_mov_b64 s[0:1], -1
	s_cbranch_vccnz .LBB54_52
; %bb.51:
	v_lshl_add_u64 v[4:5], v[2:3], 2, v[8:9]
	s_mov_b64 s[0:1], 0
	global_store_dword v[4:5], v0, off
.LBB54_52:
	s_andn2_b64 vcc, exec, s[0:1]
	s_cbranch_vccnz .LBB54_48
; %bb.53:
	v_mul_lo_u32 v1, s3, v2
	v_mul_lo_u32 v4, s2, v3
	v_mad_u64_u32 v[2:3], s[0:1], s2, v2, 0
	v_add3_u32 v3, v3, v4, v1
	v_lshl_add_u64 v[2:3], v[2:3], 2, v[6:7]
	global_store_dword v[2:3], v0, off
	s_endpgm
	.section	.rodata,"a",@progbits
	.p2align	6, 0x0
	.amdhsa_kernel _ZN9rocsparseL31bsrmm_large_blockdim_kernel_extILj16ELj16ELj2EliDF16_DF16_ffEEvb20rocsparse_direction_T3_S2_llNS_24const_host_device_scalarIT7_EEPKT2_PKS2_PKT4_S2_PKT5_llS5_PT6_ll16rocsparse_order_21rocsparse_index_base_b
		.amdhsa_group_segment_fixed_size 3072
		.amdhsa_private_segment_fixed_size 0
		.amdhsa_kernarg_size 140
		.amdhsa_user_sgpr_count 2
		.amdhsa_user_sgpr_dispatch_ptr 0
		.amdhsa_user_sgpr_queue_ptr 0
		.amdhsa_user_sgpr_kernarg_segment_ptr 1
		.amdhsa_user_sgpr_dispatch_id 0
		.amdhsa_user_sgpr_kernarg_preload_length 0
		.amdhsa_user_sgpr_kernarg_preload_offset 0
		.amdhsa_user_sgpr_private_segment_size 0
		.amdhsa_uses_dynamic_stack 0
		.amdhsa_enable_private_segment 0
		.amdhsa_system_sgpr_workgroup_id_x 1
		.amdhsa_system_sgpr_workgroup_id_y 1
		.amdhsa_system_sgpr_workgroup_id_z 0
		.amdhsa_system_sgpr_workgroup_info 0
		.amdhsa_system_vgpr_workitem_id 1
		.amdhsa_next_free_vgpr 26
		.amdhsa_next_free_sgpr 42
		.amdhsa_accum_offset 28
		.amdhsa_reserve_vcc 1
		.amdhsa_float_round_mode_32 0
		.amdhsa_float_round_mode_16_64 0
		.amdhsa_float_denorm_mode_32 3
		.amdhsa_float_denorm_mode_16_64 3
		.amdhsa_dx10_clamp 1
		.amdhsa_ieee_mode 1
		.amdhsa_fp16_overflow 0
		.amdhsa_tg_split 0
		.amdhsa_exception_fp_ieee_invalid_op 0
		.amdhsa_exception_fp_denorm_src 0
		.amdhsa_exception_fp_ieee_div_zero 0
		.amdhsa_exception_fp_ieee_overflow 0
		.amdhsa_exception_fp_ieee_underflow 0
		.amdhsa_exception_fp_ieee_inexact 0
		.amdhsa_exception_int_div_zero 0
	.end_amdhsa_kernel
	.section	.text._ZN9rocsparseL31bsrmm_large_blockdim_kernel_extILj16ELj16ELj2EliDF16_DF16_ffEEvb20rocsparse_direction_T3_S2_llNS_24const_host_device_scalarIT7_EEPKT2_PKS2_PKT4_S2_PKT5_llS5_PT6_ll16rocsparse_order_21rocsparse_index_base_b,"axG",@progbits,_ZN9rocsparseL31bsrmm_large_blockdim_kernel_extILj16ELj16ELj2EliDF16_DF16_ffEEvb20rocsparse_direction_T3_S2_llNS_24const_host_device_scalarIT7_EEPKT2_PKS2_PKT4_S2_PKT5_llS5_PT6_ll16rocsparse_order_21rocsparse_index_base_b,comdat
.Lfunc_end54:
	.size	_ZN9rocsparseL31bsrmm_large_blockdim_kernel_extILj16ELj16ELj2EliDF16_DF16_ffEEvb20rocsparse_direction_T3_S2_llNS_24const_host_device_scalarIT7_EEPKT2_PKS2_PKT4_S2_PKT5_llS5_PT6_ll16rocsparse_order_21rocsparse_index_base_b, .Lfunc_end54-_ZN9rocsparseL31bsrmm_large_blockdim_kernel_extILj16ELj16ELj2EliDF16_DF16_ffEEvb20rocsparse_direction_T3_S2_llNS_24const_host_device_scalarIT7_EEPKT2_PKS2_PKT4_S2_PKT5_llS5_PT6_ll16rocsparse_order_21rocsparse_index_base_b
                                        ; -- End function
	.set _ZN9rocsparseL31bsrmm_large_blockdim_kernel_extILj16ELj16ELj2EliDF16_DF16_ffEEvb20rocsparse_direction_T3_S2_llNS_24const_host_device_scalarIT7_EEPKT2_PKS2_PKT4_S2_PKT5_llS5_PT6_ll16rocsparse_order_21rocsparse_index_base_b.num_vgpr, 26
	.set _ZN9rocsparseL31bsrmm_large_blockdim_kernel_extILj16ELj16ELj2EliDF16_DF16_ffEEvb20rocsparse_direction_T3_S2_llNS_24const_host_device_scalarIT7_EEPKT2_PKS2_PKT4_S2_PKT5_llS5_PT6_ll16rocsparse_order_21rocsparse_index_base_b.num_agpr, 0
	.set _ZN9rocsparseL31bsrmm_large_blockdim_kernel_extILj16ELj16ELj2EliDF16_DF16_ffEEvb20rocsparse_direction_T3_S2_llNS_24const_host_device_scalarIT7_EEPKT2_PKS2_PKT4_S2_PKT5_llS5_PT6_ll16rocsparse_order_21rocsparse_index_base_b.numbered_sgpr, 42
	.set _ZN9rocsparseL31bsrmm_large_blockdim_kernel_extILj16ELj16ELj2EliDF16_DF16_ffEEvb20rocsparse_direction_T3_S2_llNS_24const_host_device_scalarIT7_EEPKT2_PKS2_PKT4_S2_PKT5_llS5_PT6_ll16rocsparse_order_21rocsparse_index_base_b.num_named_barrier, 0
	.set _ZN9rocsparseL31bsrmm_large_blockdim_kernel_extILj16ELj16ELj2EliDF16_DF16_ffEEvb20rocsparse_direction_T3_S2_llNS_24const_host_device_scalarIT7_EEPKT2_PKS2_PKT4_S2_PKT5_llS5_PT6_ll16rocsparse_order_21rocsparse_index_base_b.private_seg_size, 0
	.set _ZN9rocsparseL31bsrmm_large_blockdim_kernel_extILj16ELj16ELj2EliDF16_DF16_ffEEvb20rocsparse_direction_T3_S2_llNS_24const_host_device_scalarIT7_EEPKT2_PKS2_PKT4_S2_PKT5_llS5_PT6_ll16rocsparse_order_21rocsparse_index_base_b.uses_vcc, 1
	.set _ZN9rocsparseL31bsrmm_large_blockdim_kernel_extILj16ELj16ELj2EliDF16_DF16_ffEEvb20rocsparse_direction_T3_S2_llNS_24const_host_device_scalarIT7_EEPKT2_PKS2_PKT4_S2_PKT5_llS5_PT6_ll16rocsparse_order_21rocsparse_index_base_b.uses_flat_scratch, 0
	.set _ZN9rocsparseL31bsrmm_large_blockdim_kernel_extILj16ELj16ELj2EliDF16_DF16_ffEEvb20rocsparse_direction_T3_S2_llNS_24const_host_device_scalarIT7_EEPKT2_PKS2_PKT4_S2_PKT5_llS5_PT6_ll16rocsparse_order_21rocsparse_index_base_b.has_dyn_sized_stack, 0
	.set _ZN9rocsparseL31bsrmm_large_blockdim_kernel_extILj16ELj16ELj2EliDF16_DF16_ffEEvb20rocsparse_direction_T3_S2_llNS_24const_host_device_scalarIT7_EEPKT2_PKS2_PKT4_S2_PKT5_llS5_PT6_ll16rocsparse_order_21rocsparse_index_base_b.has_recursion, 0
	.set _ZN9rocsparseL31bsrmm_large_blockdim_kernel_extILj16ELj16ELj2EliDF16_DF16_ffEEvb20rocsparse_direction_T3_S2_llNS_24const_host_device_scalarIT7_EEPKT2_PKS2_PKT4_S2_PKT5_llS5_PT6_ll16rocsparse_order_21rocsparse_index_base_b.has_indirect_call, 0
	.section	.AMDGPU.csdata,"",@progbits
; Kernel info:
; codeLenInByte = 1696
; TotalNumSgprs: 48
; NumVgprs: 26
; NumAgprs: 0
; TotalNumVgprs: 26
; ScratchSize: 0
; MemoryBound: 0
; FloatMode: 240
; IeeeMode: 1
; LDSByteSize: 3072 bytes/workgroup (compile time only)
; SGPRBlocks: 5
; VGPRBlocks: 3
; NumSGPRsForWavesPerEU: 48
; NumVGPRsForWavesPerEU: 26
; AccumOffset: 28
; Occupancy: 8
; WaveLimiterHint : 1
; COMPUTE_PGM_RSRC2:SCRATCH_EN: 0
; COMPUTE_PGM_RSRC2:USER_SGPR: 2
; COMPUTE_PGM_RSRC2:TRAP_HANDLER: 0
; COMPUTE_PGM_RSRC2:TGID_X_EN: 1
; COMPUTE_PGM_RSRC2:TGID_Y_EN: 1
; COMPUTE_PGM_RSRC2:TGID_Z_EN: 0
; COMPUTE_PGM_RSRC2:TIDIG_COMP_CNT: 1
; COMPUTE_PGM_RSRC3_GFX90A:ACCUM_OFFSET: 6
; COMPUTE_PGM_RSRC3_GFX90A:TG_SPLIT: 0
	.section	.text._ZN9rocsparseL31bsrmm_large_blockdim_kernel_extILj32ELj32ELj2EliDF16_DF16_ffEEvb20rocsparse_direction_T3_S2_llNS_24const_host_device_scalarIT7_EEPKT2_PKS2_PKT4_S2_PKT5_llS5_PT6_ll16rocsparse_order_21rocsparse_index_base_b,"axG",@progbits,_ZN9rocsparseL31bsrmm_large_blockdim_kernel_extILj32ELj32ELj2EliDF16_DF16_ffEEvb20rocsparse_direction_T3_S2_llNS_24const_host_device_scalarIT7_EEPKT2_PKS2_PKT4_S2_PKT5_llS5_PT6_ll16rocsparse_order_21rocsparse_index_base_b,comdat
	.globl	_ZN9rocsparseL31bsrmm_large_blockdim_kernel_extILj32ELj32ELj2EliDF16_DF16_ffEEvb20rocsparse_direction_T3_S2_llNS_24const_host_device_scalarIT7_EEPKT2_PKS2_PKT4_S2_PKT5_llS5_PT6_ll16rocsparse_order_21rocsparse_index_base_b ; -- Begin function _ZN9rocsparseL31bsrmm_large_blockdim_kernel_extILj32ELj32ELj2EliDF16_DF16_ffEEvb20rocsparse_direction_T3_S2_llNS_24const_host_device_scalarIT7_EEPKT2_PKS2_PKT4_S2_PKT5_llS5_PT6_ll16rocsparse_order_21rocsparse_index_base_b
	.p2align	8
	.type	_ZN9rocsparseL31bsrmm_large_blockdim_kernel_extILj32ELj32ELj2EliDF16_DF16_ffEEvb20rocsparse_direction_T3_S2_llNS_24const_host_device_scalarIT7_EEPKT2_PKS2_PKT4_S2_PKT5_llS5_PT6_ll16rocsparse_order_21rocsparse_index_base_b,@function
_ZN9rocsparseL31bsrmm_large_blockdim_kernel_extILj32ELj32ELj2EliDF16_DF16_ffEEvb20rocsparse_direction_T3_S2_llNS_24const_host_device_scalarIT7_EEPKT2_PKS2_PKT4_S2_PKT5_llS5_PT6_ll16rocsparse_order_21rocsparse_index_base_b: ; @_ZN9rocsparseL31bsrmm_large_blockdim_kernel_extILj32ELj32ELj2EliDF16_DF16_ffEEvb20rocsparse_direction_T3_S2_llNS_24const_host_device_scalarIT7_EEPKT2_PKS2_PKT4_S2_PKT5_llS5_PT6_ll16rocsparse_order_21rocsparse_index_base_b
; %bb.0:
	s_load_dwordx4 s[16:19], s[0:1], 0x80
	s_mov_b32 s4, s3
	s_waitcnt lgkmcnt(0)
	s_bitcmp1_b32 s18, 0
	s_load_dwordx2 s[18:19], s[0:1], 0x20
	s_load_dwordx2 s[28:29], s[0:1], 0x60
	s_cselect_b64 s[8:9], -1, 0
	s_xor_b64 s[6:7], s[8:9], -1
	s_and_b64 vcc, exec, s[8:9]
	s_cbranch_vccnz .LBB55_2
; %bb.1:
	s_waitcnt lgkmcnt(0)
	s_load_dword s18, s[18:19], 0x0
.LBB55_2:
	s_andn2_b64 vcc, exec, s[6:7]
	s_cbranch_vccnz .LBB55_4
; %bb.3:
	s_waitcnt lgkmcnt(0)
	s_load_dword s28, s[28:29], 0x0
.LBB55_4:
	s_waitcnt lgkmcnt(0)
	v_cmp_eq_f32_e64 s[6:7], s18, 0
	v_cmp_eq_f32_e64 s[8:9], s28, 1.0
	s_and_b64 s[6:7], s[6:7], s[8:9]
	s_and_b64 vcc, exec, s[6:7]
	s_cbranch_vccnz .LBB55_48
; %bb.5:
	s_load_dwordx4 s[12:15], s[0:1], 0x0
	s_load_dwordx2 s[6:7], s[0:1], 0x28
	s_mov_b64 s[40:41], 0
	s_mov_b64 s[36:37], 0
	s_waitcnt lgkmcnt(0)
	s_cmp_lt_i32 s2, s14
	s_cselect_b64 s[30:31], -1, 0
	s_cmp_ge_i32 s2, s14
	s_cbranch_scc1 .LBB55_7
; %bb.6:
	s_ashr_i32 s3, s2, 31
	s_lshl_b64 s[8:9], s[2:3], 3
	s_add_u32 s8, s6, s8
	s_addc_u32 s9, s7, s9
	s_load_dwordx2 s[8:9], s[8:9], 0x0
	s_waitcnt lgkmcnt(0)
	s_sub_u32 s36, s8, s17
	s_subb_u32 s37, s9, 0
.LBB55_7:
	s_andn2_b64 vcc, exec, s[30:31]
	s_cbranch_vccnz .LBB55_9
; %bb.8:
	s_ashr_i32 s3, s2, 31
	s_lshl_b64 s[8:9], s[2:3], 3
	s_add_u32 s6, s6, s8
	s_addc_u32 s7, s7, s9
	s_load_dwordx2 s[6:7], s[6:7], 0x8
	s_waitcnt lgkmcnt(0)
	s_sub_u32 s40, s6, s17
	s_subb_u32 s41, s7, 0
.LBB55_9:
	s_load_dwordx2 s[34:35], s[0:1], 0x68
	s_load_dword s3, s[0:1], 0x40
	v_bfe_u32 v3, v0, 10, 10
	v_lshl_add_u32 v4, s4, 6, v3
	v_and_b32_e32 v18, 0x3ff, v0
	v_mov_b64_e32 v[0:1], s[40:41]
	v_add_u32_e32 v2, 32, v4
	v_cmp_ge_i64_e32 vcc, s[36:37], v[0:1]
	s_waitcnt lgkmcnt(0)
	v_cmp_gt_i32_e64 s[4:5], s3, v18
	v_cmp_gt_i32_e64 s[6:7], s15, v4
	;; [unrolled: 1-line block ×3, first 2 shown]
	s_cbranch_vccnz .LBB55_27
; %bb.10:
	s_load_dwordx4 s[20:23], s[0:1], 0x30
	s_load_dwordx4 s[24:27], s[0:1], 0x48
	v_mov_b32_e32 v0, 0x2000
	v_lshl_or_b32 v14, v3, 2, v0
	v_mul_lo_u32 v0, s3, v3
	v_mov_b32_e32 v1, 0
	v_cmp_gt_i32_e32 vcc, s3, v3
	s_waitcnt lgkmcnt(0)
	v_lshl_add_u64 v[6:7], v[0:1], 1, s[22:23]
	v_lshlrev_b32_e32 v0, 1, v18
	s_and_b64 s[38:39], s[4:5], vcc
	v_lshl_add_u64 v[10:11], v[6:7], 0, v[0:1]
	v_mul_lo_u32 v0, s3, v18
	s_bitcmp1_b32 s12, 0
	v_lshl_add_u64 v[6:7], v[0:1], 1, s[22:23]
	v_lshlrev_b32_e32 v0, 1, v3
	v_ashrrev_i32_e32 v5, 31, v4
	s_cselect_b64 s[10:11], -1, 0
	v_lshlrev_b32_e32 v19, 7, v3
	s_cmp_eq_u32 s13, 0
	v_lshl_add_u64 v[12:13], v[6:7], 0, v[0:1]
	v_mul_lo_u32 v0, s27, v4
	v_mul_lo_u32 v3, s26, v5
	v_mad_u64_u32 v[6:7], s[12:13], s26, v4, 0
	v_add3_u32 v7, v7, v3, v0
	v_ashrrev_i32_e32 v3, 31, v2
	v_lshlrev_b32_e32 v15, 2, v18
	v_lshlrev_b32_e32 v16, 7, v18
	v_mul_lo_u32 v0, s27, v2
	v_mul_lo_u32 v17, s26, v3
	v_mad_u64_u32 v[8:9], s[12:13], s26, v2, 0
	s_cselect_b64 vcc, -1, 0
	s_mul_i32 s14, s3, s3
	v_add3_u32 v9, v9, v17, v0
	v_cndmask_b32_e32 v11, v11, v13, vcc
	v_cndmask_b32_e32 v10, v10, v12, vcc
	v_add_u32_e32 v20, 0x2000, v16
	v_add_u32_e32 v21, 0x1000, v19
	v_mov_b32_e32 v0, v1
	v_add_u32_e32 v22, v15, v19
	v_add_u32_e32 v23, v14, v16
	v_mov_b64_e32 v[12:13], s[40:41]
	s_branch .LBB55_13
.LBB55_11:                              ;   in Loop: Header=BB55_13 Depth=1
	s_or_b64 exec, exec, s[22:23]
.LBB55_12:                              ;   in Loop: Header=BB55_13 Depth=1
	s_or_b64 exec, exec, s[12:13]
	s_add_u32 s36, s36, 1
	s_addc_u32 s37, s37, 0
	v_cmp_ge_i64_e32 vcc, s[36:37], v[12:13]
	s_barrier
	s_cbranch_vccnz .LBB55_28
.LBB55_13:                              ; =>This Loop Header: Depth=1
                                        ;     Child Loop BB55_23 Depth 2
                                        ;     Child Loop BB55_26 Depth 2
	s_and_saveexec_b64 s[12:13], s[4:5]
	s_cbranch_execz .LBB55_18
; %bb.14:                               ;   in Loop: Header=BB55_13 Depth=1
	s_lshl_b64 s[22:23], s[36:37], 2
	s_add_u32 s22, s20, s22
	s_addc_u32 s23, s21, s23
	s_load_dword s19, s[22:23], 0x0
	s_waitcnt lgkmcnt(0)
	s_sub_i32 s19, s19, s17
	s_mul_i32 s19, s19, s3
	v_add_u32_e32 v16, s19, v18
	v_ashrrev_i32_e32 v17, 31, v16
	v_mul_lo_u32 v24, s27, v16
	v_mad_u64_u32 v[14:15], s[22:23], s26, v16, 0
	v_mul_lo_u32 v25, s26, v17
	v_add3_u32 v15, v15, v25, v24
	v_lshl_add_u64 v[14:15], v[14:15], 1, s[24:25]
	v_lshl_add_u64 v[16:17], v[16:17], 1, s[24:25]
	s_and_saveexec_b64 s[22:23], s[6:7]
	s_cbranch_execz .LBB55_16
; %bb.15:                               ;   in Loop: Header=BB55_13 Depth=1
	v_lshl_add_u64 v[24:25], v[4:5], 1, v[14:15]
	v_lshl_add_u64 v[26:27], v[6:7], 1, v[16:17]
	v_cndmask_b32_e64 v25, v25, v27, s[10:11]
	v_cndmask_b32_e64 v24, v24, v26, s[10:11]
	global_load_ushort v24, v[24:25], off
	s_waitcnt vmcnt(0)
	v_cvt_f32_f16_e32 v24, v24
	ds_write_b32 v22, v24
.LBB55_16:                              ;   in Loop: Header=BB55_13 Depth=1
	s_or_b64 exec, exec, s[22:23]
	s_and_b64 exec, exec, s[8:9]
	s_cbranch_execz .LBB55_18
; %bb.17:                               ;   in Loop: Header=BB55_13 Depth=1
	v_lshl_add_u64 v[16:17], v[8:9], 1, v[16:17]
	v_lshl_add_u64 v[14:15], v[2:3], 1, v[14:15]
	v_cndmask_b32_e64 v15, v15, v17, s[10:11]
	v_cndmask_b32_e64 v14, v14, v16, s[10:11]
	global_load_ushort v14, v[14:15], off
	s_waitcnt vmcnt(0)
	v_cvt_f32_f16_e32 v14, v14
	ds_write_b32 v22, v14 offset:4096
.LBB55_18:                              ;   in Loop: Header=BB55_13 Depth=1
	s_or_b64 exec, exec, s[12:13]
	s_and_saveexec_b64 s[12:13], s[38:39]
	s_cbranch_execz .LBB55_20
; %bb.19:                               ;   in Loop: Header=BB55_13 Depth=1
	s_mul_i32 s19, s37, s14
	s_mul_hi_u32 s22, s36, s14
	s_add_i32 s23, s22, s19
	s_mul_i32 s22, s36, s14
	v_lshl_add_u64 v[14:15], s[22:23], 1, v[10:11]
	global_load_ushort v14, v[14:15], off
	s_waitcnt vmcnt(0)
	v_cvt_f32_f16_e32 v14, v14
	ds_write_b32 v23, v14
.LBB55_20:                              ;   in Loop: Header=BB55_13 Depth=1
	s_or_b64 exec, exec, s[12:13]
	s_waitcnt lgkmcnt(0)
	s_barrier
	s_and_saveexec_b64 s[12:13], s[4:5]
	s_cbranch_execz .LBB55_12
; %bb.21:                               ;   in Loop: Header=BB55_13 Depth=1
	s_and_saveexec_b64 s[22:23], s[6:7]
	s_cbranch_execz .LBB55_24
; %bb.22:                               ;   in Loop: Header=BB55_13 Depth=1
	v_mov_b32_e32 v14, v20
	v_mov_b32_e32 v15, v19
	s_mov_b32 s19, s3
.LBB55_23:                              ;   Parent Loop BB55_13 Depth=1
                                        ; =>  This Inner Loop Header: Depth=2
	ds_read_b32 v16, v14
	ds_read_b32 v17, v15
	s_add_i32 s19, s19, -1
	v_add_u32_e32 v15, 4, v15
	v_add_u32_e32 v14, 4, v14
	s_cmp_lg_u32 s19, 0
	s_waitcnt lgkmcnt(0)
	v_fma_f32 v0, v16, v17, v0
	s_cbranch_scc1 .LBB55_23
.LBB55_24:                              ;   in Loop: Header=BB55_13 Depth=1
	s_or_b64 exec, exec, s[22:23]
	s_and_saveexec_b64 s[22:23], s[8:9]
	s_cbranch_execz .LBB55_11
; %bb.25:                               ;   in Loop: Header=BB55_13 Depth=1
	v_mov_b32_e32 v14, v20
	s_mov_b32 s19, s3
	v_mov_b32_e32 v15, v21
.LBB55_26:                              ;   Parent Loop BB55_13 Depth=1
                                        ; =>  This Inner Loop Header: Depth=2
	ds_read_b32 v16, v14
	ds_read_b32 v17, v15
	s_add_i32 s19, s19, -1
	v_add_u32_e32 v15, 4, v15
	v_add_u32_e32 v14, 4, v14
	s_cmp_lg_u32 s19, 0
	s_waitcnt lgkmcnt(0)
	v_fma_f32 v1, v16, v17, v1
	s_cbranch_scc1 .LBB55_26
	s_branch .LBB55_11
.LBB55_27:
	v_mov_b32_e32 v0, 0
	v_mov_b32_e32 v1, v0
.LBB55_28:
	s_and_b64 s[4:5], s[30:31], s[4:5]
	s_and_saveexec_b64 s[6:7], s[4:5]
	s_cbranch_execz .LBB55_48
; %bb.29:
	s_mul_i32 s2, s3, s2
	v_add_u32_e32 v6, s2, v18
	s_load_dwordx2 s[2:3], s[0:1], 0x70
	v_ashrrev_i32_e32 v7, 31, v6
	s_cmp_lg_u32 s16, 1
	v_cmp_neq_f32_e64 s[0:1], s28, 0
	s_cselect_b64 s[4:5], -1, 0
	s_waitcnt lgkmcnt(0)
	v_mul_lo_u32 v3, s2, v7
	v_mul_lo_u32 v5, s3, v6
	v_mad_u64_u32 v[8:9], s[6:7], s2, v6, 0
	v_add3_u32 v9, v9, v3, v5
	v_lshl_add_u64 v[8:9], v[8:9], 2, s[34:35]
	v_lshl_add_u64 v[6:7], v[6:7], 2, s[34:35]
	v_cmp_gt_i32_e32 vcc, s15, v4
	s_and_saveexec_b64 s[6:7], vcc
	s_cbranch_execz .LBB55_41
; %bb.30:
	s_and_b64 vcc, exec, s[0:1]
	v_ashrrev_i32_e32 v5, 31, v4
	s_mov_b64 s[8:9], -1
	s_cbranch_vccz .LBB55_36
; %bb.31:
	s_and_b64 vcc, exec, s[4:5]
	s_cbranch_vccz .LBB55_33
; %bb.32:
	v_lshl_add_u64 v[10:11], v[4:5], 2, v[8:9]
	global_load_dword v3, v[10:11], off
	v_mul_f32_e32 v12, s18, v0
	s_mov_b64 s[8:9], 0
	s_waitcnt vmcnt(0)
	v_fmac_f32_e32 v12, s28, v3
	global_store_dword v[10:11], v12, off
.LBB55_33:
	s_andn2_b64 vcc, exec, s[8:9]
	s_cbranch_vccnz .LBB55_35
; %bb.34:
	v_mul_lo_u32 v3, s3, v4
	v_mul_lo_u32 v12, s2, v5
	v_mad_u64_u32 v[10:11], s[8:9], s2, v4, 0
	v_add3_u32 v11, v11, v12, v3
	v_lshl_add_u64 v[10:11], v[10:11], 2, v[6:7]
	global_load_dword v3, v[10:11], off
	v_mul_f32_e32 v12, s18, v0
	s_waitcnt vmcnt(0)
	v_fmac_f32_e32 v12, s28, v3
	global_store_dword v[10:11], v12, off
.LBB55_35:
	s_mov_b64 s[8:9], 0
.LBB55_36:
	s_andn2_b64 vcc, exec, s[8:9]
	s_cbranch_vccnz .LBB55_41
; %bb.37:
	v_mul_f32_e32 v0, s18, v0
	s_mov_b64 s[8:9], -1
	s_and_b64 vcc, exec, s[4:5]
	s_cbranch_vccz .LBB55_39
; %bb.38:
	v_lshl_add_u64 v[10:11], v[4:5], 2, v[8:9]
	global_store_dword v[10:11], v0, off
	s_mov_b64 s[8:9], 0
.LBB55_39:
	s_andn2_b64 vcc, exec, s[8:9]
	s_cbranch_vccnz .LBB55_41
; %bb.40:
	v_mul_lo_u32 v3, s3, v4
	v_mul_lo_u32 v10, s2, v5
	v_mad_u64_u32 v[4:5], s[8:9], s2, v4, 0
	v_add3_u32 v5, v5, v10, v3
	v_lshl_add_u64 v[4:5], v[4:5], 2, v[6:7]
	global_store_dword v[4:5], v0, off
.LBB55_41:
	s_or_b64 exec, exec, s[6:7]
	v_cmp_gt_i32_e32 vcc, s15, v2
	s_and_b64 exec, exec, vcc
	s_cbranch_execz .LBB55_48
; %bb.42:
	v_cndmask_b32_e64 v0, 0, 1, s[4:5]
	s_andn2_b64 vcc, exec, s[0:1]
	v_ashrrev_i32_e32 v3, 31, v2
	v_cmp_ne_u32_e64 s[0:1], 1, v0
	s_cbranch_vccnz .LBB55_49
; %bb.43:
	s_and_b64 vcc, exec, s[0:1]
	s_mov_b64 s[4:5], -1
	s_cbranch_vccnz .LBB55_45
; %bb.44:
	v_lshl_add_u64 v[4:5], v[2:3], 2, v[8:9]
	global_load_dword v0, v[4:5], off
	v_mul_f32_e32 v10, s18, v1
	s_mov_b64 s[4:5], 0
	s_waitcnt vmcnt(0)
	v_fmac_f32_e32 v10, s28, v0
	global_store_dword v[4:5], v10, off
.LBB55_45:
	s_andn2_b64 vcc, exec, s[4:5]
	s_cbranch_vccnz .LBB55_47
; %bb.46:
	v_mul_lo_u32 v0, s3, v2
	v_mul_lo_u32 v10, s2, v3
	v_mad_u64_u32 v[4:5], s[4:5], s2, v2, 0
	v_add3_u32 v5, v5, v10, v0
	v_lshl_add_u64 v[4:5], v[4:5], 2, v[6:7]
	global_load_dword v0, v[4:5], off
	v_mul_f32_e32 v10, s18, v1
	s_waitcnt vmcnt(0)
	v_fmac_f32_e32 v10, s28, v0
	global_store_dword v[4:5], v10, off
.LBB55_47:
	s_cbranch_execz .LBB55_50
.LBB55_48:
	s_endpgm
.LBB55_49:
.LBB55_50:
	v_mul_f32_e32 v0, s18, v1
	s_and_b64 vcc, exec, s[0:1]
	s_mov_b64 s[0:1], -1
	s_cbranch_vccnz .LBB55_52
; %bb.51:
	v_lshl_add_u64 v[4:5], v[2:3], 2, v[8:9]
	s_mov_b64 s[0:1], 0
	global_store_dword v[4:5], v0, off
.LBB55_52:
	s_andn2_b64 vcc, exec, s[0:1]
	s_cbranch_vccnz .LBB55_48
; %bb.53:
	v_mul_lo_u32 v1, s3, v2
	v_mul_lo_u32 v4, s2, v3
	v_mad_u64_u32 v[2:3], s[0:1], s2, v2, 0
	v_add3_u32 v3, v3, v4, v1
	v_lshl_add_u64 v[2:3], v[2:3], 2, v[6:7]
	global_store_dword v[2:3], v0, off
	s_endpgm
	.section	.rodata,"a",@progbits
	.p2align	6, 0x0
	.amdhsa_kernel _ZN9rocsparseL31bsrmm_large_blockdim_kernel_extILj32ELj32ELj2EliDF16_DF16_ffEEvb20rocsparse_direction_T3_S2_llNS_24const_host_device_scalarIT7_EEPKT2_PKS2_PKT4_S2_PKT5_llS5_PT6_ll16rocsparse_order_21rocsparse_index_base_b
		.amdhsa_group_segment_fixed_size 12288
		.amdhsa_private_segment_fixed_size 0
		.amdhsa_kernarg_size 140
		.amdhsa_user_sgpr_count 2
		.amdhsa_user_sgpr_dispatch_ptr 0
		.amdhsa_user_sgpr_queue_ptr 0
		.amdhsa_user_sgpr_kernarg_segment_ptr 1
		.amdhsa_user_sgpr_dispatch_id 0
		.amdhsa_user_sgpr_kernarg_preload_length 0
		.amdhsa_user_sgpr_kernarg_preload_offset 0
		.amdhsa_user_sgpr_private_segment_size 0
		.amdhsa_uses_dynamic_stack 0
		.amdhsa_enable_private_segment 0
		.amdhsa_system_sgpr_workgroup_id_x 1
		.amdhsa_system_sgpr_workgroup_id_y 1
		.amdhsa_system_sgpr_workgroup_id_z 0
		.amdhsa_system_sgpr_workgroup_info 0
		.amdhsa_system_vgpr_workitem_id 1
		.amdhsa_next_free_vgpr 28
		.amdhsa_next_free_sgpr 42
		.amdhsa_accum_offset 28
		.amdhsa_reserve_vcc 1
		.amdhsa_float_round_mode_32 0
		.amdhsa_float_round_mode_16_64 0
		.amdhsa_float_denorm_mode_32 3
		.amdhsa_float_denorm_mode_16_64 3
		.amdhsa_dx10_clamp 1
		.amdhsa_ieee_mode 1
		.amdhsa_fp16_overflow 0
		.amdhsa_tg_split 0
		.amdhsa_exception_fp_ieee_invalid_op 0
		.amdhsa_exception_fp_denorm_src 0
		.amdhsa_exception_fp_ieee_div_zero 0
		.amdhsa_exception_fp_ieee_overflow 0
		.amdhsa_exception_fp_ieee_underflow 0
		.amdhsa_exception_fp_ieee_inexact 0
		.amdhsa_exception_int_div_zero 0
	.end_amdhsa_kernel
	.section	.text._ZN9rocsparseL31bsrmm_large_blockdim_kernel_extILj32ELj32ELj2EliDF16_DF16_ffEEvb20rocsparse_direction_T3_S2_llNS_24const_host_device_scalarIT7_EEPKT2_PKS2_PKT4_S2_PKT5_llS5_PT6_ll16rocsparse_order_21rocsparse_index_base_b,"axG",@progbits,_ZN9rocsparseL31bsrmm_large_blockdim_kernel_extILj32ELj32ELj2EliDF16_DF16_ffEEvb20rocsparse_direction_T3_S2_llNS_24const_host_device_scalarIT7_EEPKT2_PKS2_PKT4_S2_PKT5_llS5_PT6_ll16rocsparse_order_21rocsparse_index_base_b,comdat
.Lfunc_end55:
	.size	_ZN9rocsparseL31bsrmm_large_blockdim_kernel_extILj32ELj32ELj2EliDF16_DF16_ffEEvb20rocsparse_direction_T3_S2_llNS_24const_host_device_scalarIT7_EEPKT2_PKS2_PKT4_S2_PKT5_llS5_PT6_ll16rocsparse_order_21rocsparse_index_base_b, .Lfunc_end55-_ZN9rocsparseL31bsrmm_large_blockdim_kernel_extILj32ELj32ELj2EliDF16_DF16_ffEEvb20rocsparse_direction_T3_S2_llNS_24const_host_device_scalarIT7_EEPKT2_PKS2_PKT4_S2_PKT5_llS5_PT6_ll16rocsparse_order_21rocsparse_index_base_b
                                        ; -- End function
	.set _ZN9rocsparseL31bsrmm_large_blockdim_kernel_extILj32ELj32ELj2EliDF16_DF16_ffEEvb20rocsparse_direction_T3_S2_llNS_24const_host_device_scalarIT7_EEPKT2_PKS2_PKT4_S2_PKT5_llS5_PT6_ll16rocsparse_order_21rocsparse_index_base_b.num_vgpr, 28
	.set _ZN9rocsparseL31bsrmm_large_blockdim_kernel_extILj32ELj32ELj2EliDF16_DF16_ffEEvb20rocsparse_direction_T3_S2_llNS_24const_host_device_scalarIT7_EEPKT2_PKS2_PKT4_S2_PKT5_llS5_PT6_ll16rocsparse_order_21rocsparse_index_base_b.num_agpr, 0
	.set _ZN9rocsparseL31bsrmm_large_blockdim_kernel_extILj32ELj32ELj2EliDF16_DF16_ffEEvb20rocsparse_direction_T3_S2_llNS_24const_host_device_scalarIT7_EEPKT2_PKS2_PKT4_S2_PKT5_llS5_PT6_ll16rocsparse_order_21rocsparse_index_base_b.numbered_sgpr, 42
	.set _ZN9rocsparseL31bsrmm_large_blockdim_kernel_extILj32ELj32ELj2EliDF16_DF16_ffEEvb20rocsparse_direction_T3_S2_llNS_24const_host_device_scalarIT7_EEPKT2_PKS2_PKT4_S2_PKT5_llS5_PT6_ll16rocsparse_order_21rocsparse_index_base_b.num_named_barrier, 0
	.set _ZN9rocsparseL31bsrmm_large_blockdim_kernel_extILj32ELj32ELj2EliDF16_DF16_ffEEvb20rocsparse_direction_T3_S2_llNS_24const_host_device_scalarIT7_EEPKT2_PKS2_PKT4_S2_PKT5_llS5_PT6_ll16rocsparse_order_21rocsparse_index_base_b.private_seg_size, 0
	.set _ZN9rocsparseL31bsrmm_large_blockdim_kernel_extILj32ELj32ELj2EliDF16_DF16_ffEEvb20rocsparse_direction_T3_S2_llNS_24const_host_device_scalarIT7_EEPKT2_PKS2_PKT4_S2_PKT5_llS5_PT6_ll16rocsparse_order_21rocsparse_index_base_b.uses_vcc, 1
	.set _ZN9rocsparseL31bsrmm_large_blockdim_kernel_extILj32ELj32ELj2EliDF16_DF16_ffEEvb20rocsparse_direction_T3_S2_llNS_24const_host_device_scalarIT7_EEPKT2_PKS2_PKT4_S2_PKT5_llS5_PT6_ll16rocsparse_order_21rocsparse_index_base_b.uses_flat_scratch, 0
	.set _ZN9rocsparseL31bsrmm_large_blockdim_kernel_extILj32ELj32ELj2EliDF16_DF16_ffEEvb20rocsparse_direction_T3_S2_llNS_24const_host_device_scalarIT7_EEPKT2_PKS2_PKT4_S2_PKT5_llS5_PT6_ll16rocsparse_order_21rocsparse_index_base_b.has_dyn_sized_stack, 0
	.set _ZN9rocsparseL31bsrmm_large_blockdim_kernel_extILj32ELj32ELj2EliDF16_DF16_ffEEvb20rocsparse_direction_T3_S2_llNS_24const_host_device_scalarIT7_EEPKT2_PKS2_PKT4_S2_PKT5_llS5_PT6_ll16rocsparse_order_21rocsparse_index_base_b.has_recursion, 0
	.set _ZN9rocsparseL31bsrmm_large_blockdim_kernel_extILj32ELj32ELj2EliDF16_DF16_ffEEvb20rocsparse_direction_T3_S2_llNS_24const_host_device_scalarIT7_EEPKT2_PKS2_PKT4_S2_PKT5_llS5_PT6_ll16rocsparse_order_21rocsparse_index_base_b.has_indirect_call, 0
	.section	.AMDGPU.csdata,"",@progbits
; Kernel info:
; codeLenInByte = 1696
; TotalNumSgprs: 48
; NumVgprs: 28
; NumAgprs: 0
; TotalNumVgprs: 28
; ScratchSize: 0
; MemoryBound: 0
; FloatMode: 240
; IeeeMode: 1
; LDSByteSize: 12288 bytes/workgroup (compile time only)
; SGPRBlocks: 5
; VGPRBlocks: 3
; NumSGPRsForWavesPerEU: 48
; NumVGPRsForWavesPerEU: 28
; AccumOffset: 28
; Occupancy: 8
; WaveLimiterHint : 1
; COMPUTE_PGM_RSRC2:SCRATCH_EN: 0
; COMPUTE_PGM_RSRC2:USER_SGPR: 2
; COMPUTE_PGM_RSRC2:TRAP_HANDLER: 0
; COMPUTE_PGM_RSRC2:TGID_X_EN: 1
; COMPUTE_PGM_RSRC2:TGID_Y_EN: 1
; COMPUTE_PGM_RSRC2:TGID_Z_EN: 0
; COMPUTE_PGM_RSRC2:TIDIG_COMP_CNT: 1
; COMPUTE_PGM_RSRC3_GFX90A:ACCUM_OFFSET: 6
; COMPUTE_PGM_RSRC3_GFX90A:TG_SPLIT: 0
	.section	.text._ZN9rocsparseL31bsrmm_large_blockdim_kernel_extILj8ELj8ELj2EllDF16_DF16_ffEEvb20rocsparse_direction_T3_S2_llNS_24const_host_device_scalarIT7_EEPKT2_PKS2_PKT4_S2_PKT5_llS5_PT6_ll16rocsparse_order_21rocsparse_index_base_b,"axG",@progbits,_ZN9rocsparseL31bsrmm_large_blockdim_kernel_extILj8ELj8ELj2EllDF16_DF16_ffEEvb20rocsparse_direction_T3_S2_llNS_24const_host_device_scalarIT7_EEPKT2_PKS2_PKT4_S2_PKT5_llS5_PT6_ll16rocsparse_order_21rocsparse_index_base_b,comdat
	.globl	_ZN9rocsparseL31bsrmm_large_blockdim_kernel_extILj8ELj8ELj2EllDF16_DF16_ffEEvb20rocsparse_direction_T3_S2_llNS_24const_host_device_scalarIT7_EEPKT2_PKS2_PKT4_S2_PKT5_llS5_PT6_ll16rocsparse_order_21rocsparse_index_base_b ; -- Begin function _ZN9rocsparseL31bsrmm_large_blockdim_kernel_extILj8ELj8ELj2EllDF16_DF16_ffEEvb20rocsparse_direction_T3_S2_llNS_24const_host_device_scalarIT7_EEPKT2_PKS2_PKT4_S2_PKT5_llS5_PT6_ll16rocsparse_order_21rocsparse_index_base_b
	.p2align	8
	.type	_ZN9rocsparseL31bsrmm_large_blockdim_kernel_extILj8ELj8ELj2EllDF16_DF16_ffEEvb20rocsparse_direction_T3_S2_llNS_24const_host_device_scalarIT7_EEPKT2_PKS2_PKT4_S2_PKT5_llS5_PT6_ll16rocsparse_order_21rocsparse_index_base_b,@function
_ZN9rocsparseL31bsrmm_large_blockdim_kernel_extILj8ELj8ELj2EllDF16_DF16_ffEEvb20rocsparse_direction_T3_S2_llNS_24const_host_device_scalarIT7_EEPKT2_PKS2_PKT4_S2_PKT5_llS5_PT6_ll16rocsparse_order_21rocsparse_index_base_b: ; @_ZN9rocsparseL31bsrmm_large_blockdim_kernel_extILj8ELj8ELj2EllDF16_DF16_ffEEvb20rocsparse_direction_T3_S2_llNS_24const_host_device_scalarIT7_EEPKT2_PKS2_PKT4_S2_PKT5_llS5_PT6_ll16rocsparse_order_21rocsparse_index_base_b
; %bb.0:
	s_load_dwordx4 s[16:19], s[0:1], 0x88
	s_mov_b32 s6, s3
	s_waitcnt lgkmcnt(0)
	s_bitcmp1_b32 s18, 0
	s_load_dwordx2 s[18:19], s[0:1], 0x28
	s_load_dwordx2 s[28:29], s[0:1], 0x68
	s_cselect_b64 s[8:9], -1, 0
	s_xor_b64 s[4:5], s[8:9], -1
	s_and_b64 vcc, exec, s[8:9]
	s_cbranch_vccnz .LBB56_2
; %bb.1:
	s_waitcnt lgkmcnt(0)
	s_load_dword s18, s[18:19], 0x0
.LBB56_2:
	s_andn2_b64 vcc, exec, s[4:5]
	s_cbranch_vccnz .LBB56_4
; %bb.3:
	s_waitcnt lgkmcnt(0)
	s_load_dword s28, s[28:29], 0x0
.LBB56_4:
	s_waitcnt lgkmcnt(0)
	v_cmp_eq_f32_e64 s[4:5], s18, 0
	v_cmp_eq_f32_e64 s[8:9], s28, 1.0
	s_and_b64 s[4:5], s[4:5], s[8:9]
	s_and_b64 vcc, exec, s[4:5]
	s_cbranch_vccnz .LBB56_48
; %bb.5:
	s_load_dwordx4 s[12:15], s[0:1], 0x8
	s_load_dwordx2 s[8:9], s[0:1], 0x30
	s_ashr_i32 s3, s2, 31
	v_mov_b64_e32 v[2:3], s[2:3]
	s_mov_b64 s[34:35], 0
	s_waitcnt lgkmcnt(0)
	v_cmp_le_i64_e32 vcc, s[12:13], v[2:3]
	v_cmp_gt_i64_e64 s[4:5], s[12:13], v[2:3]
	s_mov_b64 s[36:37], 0
	s_cbranch_vccnz .LBB56_7
; %bb.6:
	s_lshl_b64 s[10:11], s[2:3], 3
	s_add_u32 s10, s8, s10
	s_addc_u32 s11, s9, s11
	s_load_dwordx2 s[10:11], s[10:11], 0x0
	s_waitcnt lgkmcnt(0)
	s_sub_u32 s36, s10, s17
	s_subb_u32 s37, s11, 0
.LBB56_7:
	s_andn2_b64 vcc, exec, s[4:5]
	s_cbranch_vccnz .LBB56_9
; %bb.8:
	s_lshl_b64 s[10:11], s[2:3], 3
	s_add_u32 s8, s8, s10
	s_addc_u32 s9, s9, s11
	s_load_dwordx2 s[8:9], s[8:9], 0x8
	s_waitcnt lgkmcnt(0)
	s_sub_u32 s34, s8, s17
	s_subb_u32 s35, s9, 0
.LBB56_9:
	s_load_dwordx2 s[30:31], s[0:1], 0x70
	s_load_dwordx2 s[38:39], s[0:1], 0x48
	v_bfe_u32 v10, v0, 10, 10
	v_lshl_add_u32 v4, s6, 4, v10
	v_mov_b32_e32 v5, 0
	v_and_b32_e32 v6, 0x3ff, v0
	v_mov_b64_e32 v[0:1], s[34:35]
	v_add_u32_e32 v2, 8, v4
	v_mov_b32_e32 v3, v5
	v_mov_b32_e32 v7, v5
	v_cmp_ge_i64_e32 vcc, s[36:37], v[0:1]
	s_waitcnt lgkmcnt(0)
	v_cmp_gt_i64_e64 s[6:7], s[38:39], v[6:7]
	v_cmp_gt_i64_e64 s[8:9], s[14:15], v[4:5]
	;; [unrolled: 1-line block ×3, first 2 shown]
	s_cbranch_vccnz .LBB56_27
; %bb.10:
	s_load_dwordx4 s[24:27], s[0:1], 0x38
	s_load_dwordx2 s[42:43], s[0:1], 0x0
	s_mul_i32 s3, s38, s39
	s_mul_hi_u32 s12, s38, s38
	v_mov_b32_e32 v11, v5
	s_add_i32 s12, s12, s3
	v_cmp_gt_i64_e32 vcc, s[38:39], v[10:11]
	s_add_i32 s3, s12, s3
	s_and_b64 s[40:41], s[6:7], vcc
	s_waitcnt lgkmcnt(0)
	s_bitcmp1_b32 s42, 0
	s_load_dwordx4 s[20:23], s[0:1], 0x50
	s_cselect_b64 s[12:13], -1, 0
	s_cmp_eq_u32 s43, 0
	v_mad_u64_u32 v[12:13], s[42:43], s38, v10, 0
	v_mov_b32_e32 v14, v13
	v_mad_u64_u32 v[14:15], s[42:43], s39, v10, v[14:15]
	v_mov_b32_e32 v0, 0x200
	v_mov_b32_e32 v13, v14
	v_lshl_add_u32 v18, v10, 2, v0
	v_lshlrev_b32_e32 v0, 1, v6
	v_mov_b32_e32 v1, v5
	v_lshl_add_u64 v[12:13], v[12:13], 1, s[26:27]
	s_waitcnt lgkmcnt(0)
	v_lshl_add_u64 v[8:9], s[20:21], 0, v[0:1]
	v_lshl_add_u64 v[0:1], v[12:13], 0, v[0:1]
	v_mad_u64_u32 v[12:13], s[42:43], s38, v6, 0
	v_mov_b32_e32 v14, v13
	v_mad_u64_u32 v[14:15], s[42:43], s39, v6, v[14:15]
	v_mov_b32_e32 v13, v14
	v_lshlrev_b32_e32 v20, 5, v10
	v_lshl_add_u64 v[12:13], v[12:13], 1, s[26:27]
	v_lshlrev_b32_e32 v10, 1, v10
	v_lshl_add_u64 v[14:15], v[12:13], 0, v[10:11]
	v_mad_u64_u32 v[10:11], s[26:27], s22, v4, 0
	v_mov_b32_e32 v12, v11
	v_mad_u64_u32 v[12:13], s[26:27], s23, v4, v[12:13]
	v_mov_b32_e32 v11, v12
	v_mad_u64_u32 v[12:13], s[26:27], s22, v2, 0
	v_mov_b32_e32 v16, v13
	v_lshlrev_b32_e32 v19, 2, v6
	s_cselect_b64 vcc, -1, 0
	v_lshlrev_b32_e32 v23, 5, v6
	v_cmp_gt_i64_e64 s[42:43], s[38:39], 0
	v_mad_u64_u32 v[16:17], s[26:27], s23, v2, v[16:17]
	s_mul_i32 s19, s38, s38
	v_mov_b32_e32 v13, v16
	s_and_b64 s[26:27], s[8:9], s[42:43]
	s_and_b64 s[42:43], s[10:11], s[42:43]
	v_cndmask_b32_e32 v15, v1, v15, vcc
	v_cndmask_b32_e32 v14, v0, v14, vcc
	v_add_u32_e32 v21, 0x200, v23
	v_add_u32_e32 v22, 0x100, v20
	v_mov_b32_e32 v0, v5
	v_mov_b32_e32 v1, v5
	v_add_u32_e32 v23, v18, v23
	v_add_u32_e32 v24, v19, v20
	s_branch .LBB56_13
.LBB56_11:                              ;   in Loop: Header=BB56_13 Depth=1
	s_or_b64 exec, exec, s[46:47]
.LBB56_12:                              ;   in Loop: Header=BB56_13 Depth=1
	s_or_b64 exec, exec, s[44:45]
	s_add_u32 s36, s36, 1
	s_addc_u32 s37, s37, 0
	v_mov_b64_e32 v[16:17], s[34:35]
	v_cmp_ge_i64_e32 vcc, s[36:37], v[16:17]
	; wave barrier
	s_cbranch_vccnz .LBB56_28
.LBB56_13:                              ; =>This Loop Header: Depth=1
                                        ;     Child Loop BB56_23 Depth 2
                                        ;     Child Loop BB56_26 Depth 2
	s_and_saveexec_b64 s[44:45], s[6:7]
	s_cbranch_execz .LBB56_18
; %bb.14:                               ;   in Loop: Header=BB56_13 Depth=1
	s_lshl_b64 s[46:47], s[36:37], 3
	s_add_u32 s46, s24, s46
	s_addc_u32 s47, s25, s47
	s_load_dwordx2 s[46:47], s[46:47], 0x0
	v_mov_b32_e32 v16, s38
	s_waitcnt lgkmcnt(0)
	s_sub_u32 s29, s46, s17
	s_subb_u32 s33, s47, 0
	s_mul_i32 s48, s29, s39
	s_mul_i32 s33, s33, s38
	s_add_i32 s33, s48, s33
	v_mad_u64_u32 v[16:17], s[48:49], s29, v16, v[6:7]
	v_add_u32_e32 v17, s33, v17
	s_mul_hi_u32 s47, s29, s38
	v_mul_lo_u32 v18, v17, s22
	v_mul_lo_u32 v19, v16, s23
	v_mad_u64_u32 v[16:17], s[48:49], v16, s22, 0
	s_mul_i32 s46, s29, s38
	s_add_i32 s47, s33, s47
	v_add3_u32 v17, v17, v19, v18
	v_lshl_add_u64 v[16:17], v[16:17], 1, s[20:21]
	v_lshl_add_u64 v[18:19], s[46:47], 1, v[8:9]
	s_and_saveexec_b64 s[46:47], s[8:9]
	s_cbranch_execz .LBB56_16
; %bb.15:                               ;   in Loop: Header=BB56_13 Depth=1
	v_lshl_add_u64 v[26:27], v[4:5], 1, v[16:17]
	v_lshl_add_u64 v[28:29], v[10:11], 1, v[18:19]
	v_cndmask_b32_e64 v27, v27, v29, s[12:13]
	v_cndmask_b32_e64 v26, v26, v28, s[12:13]
	global_load_ushort v25, v[26:27], off
	s_waitcnt vmcnt(0)
	v_cvt_f32_f16_e32 v25, v25
	ds_write_b32 v24, v25
.LBB56_16:                              ;   in Loop: Header=BB56_13 Depth=1
	s_or_b64 exec, exec, s[46:47]
	s_and_b64 exec, exec, s[10:11]
	s_cbranch_execz .LBB56_18
; %bb.17:                               ;   in Loop: Header=BB56_13 Depth=1
	v_lshl_add_u64 v[18:19], v[12:13], 1, v[18:19]
	v_lshl_add_u64 v[16:17], v[2:3], 1, v[16:17]
	v_cndmask_b32_e64 v17, v17, v19, s[12:13]
	v_cndmask_b32_e64 v16, v16, v18, s[12:13]
	global_load_ushort v16, v[16:17], off
	s_waitcnt vmcnt(0)
	v_cvt_f32_f16_e32 v16, v16
	ds_write_b32 v24, v16 offset:256
.LBB56_18:                              ;   in Loop: Header=BB56_13 Depth=1
	s_or_b64 exec, exec, s[44:45]
	s_and_saveexec_b64 s[44:45], s[40:41]
	s_cbranch_execz .LBB56_20
; %bb.19:                               ;   in Loop: Header=BB56_13 Depth=1
	s_mul_i32 s29, s19, s37
	s_mul_hi_u32 s33, s19, s36
	s_add_i32 s29, s33, s29
	s_mul_i32 s33, s3, s36
	s_add_i32 s47, s29, s33
	s_mul_i32 s46, s19, s36
	v_lshl_add_u64 v[16:17], s[46:47], 1, v[14:15]
	global_load_ushort v16, v[16:17], off
	s_waitcnt vmcnt(0)
	v_cvt_f32_f16_e32 v16, v16
	ds_write_b32 v23, v16
.LBB56_20:                              ;   in Loop: Header=BB56_13 Depth=1
	s_or_b64 exec, exec, s[44:45]
	s_waitcnt lgkmcnt(0)
	; wave barrier
	s_and_saveexec_b64 s[44:45], s[6:7]
	s_cbranch_execz .LBB56_12
; %bb.21:                               ;   in Loop: Header=BB56_13 Depth=1
	s_and_saveexec_b64 s[46:47], s[26:27]
	s_cbranch_execz .LBB56_24
; %bb.22:                               ;   in Loop: Header=BB56_13 Depth=1
	v_mov_b32_e32 v16, v21
	v_mov_b32_e32 v17, v20
	s_mov_b64 s[48:49], s[38:39]
.LBB56_23:                              ;   Parent Loop BB56_13 Depth=1
                                        ; =>  This Inner Loop Header: Depth=2
	ds_read_b32 v18, v16
	ds_read_b32 v19, v17
	s_add_u32 s48, s48, -1
	s_addc_u32 s49, s49, -1
	v_add_u32_e32 v17, 4, v17
	v_add_u32_e32 v16, 4, v16
	s_cmp_lg_u64 s[48:49], 0
	s_waitcnt lgkmcnt(0)
	v_fma_f32 v0, v18, v19, v0
	s_cbranch_scc1 .LBB56_23
.LBB56_24:                              ;   in Loop: Header=BB56_13 Depth=1
	s_or_b64 exec, exec, s[46:47]
	s_and_saveexec_b64 s[46:47], s[42:43]
	s_cbranch_execz .LBB56_11
; %bb.25:                               ;   in Loop: Header=BB56_13 Depth=1
	v_mov_b32_e32 v16, v21
	v_mov_b32_e32 v17, v22
	s_mov_b64 s[48:49], s[38:39]
.LBB56_26:                              ;   Parent Loop BB56_13 Depth=1
                                        ; =>  This Inner Loop Header: Depth=2
	ds_read_b32 v18, v16
	ds_read_b32 v19, v17
	s_add_u32 s48, s48, -1
	s_addc_u32 s49, s49, -1
	v_add_u32_e32 v17, 4, v17
	v_add_u32_e32 v16, 4, v16
	s_cmp_lg_u64 s[48:49], 0
	s_waitcnt lgkmcnt(0)
	v_fma_f32 v1, v18, v19, v1
	s_cbranch_scc1 .LBB56_26
	s_branch .LBB56_11
.LBB56_27:
	v_mov_b32_e32 v0, v5
	v_mov_b32_e32 v1, v5
.LBB56_28:
	s_and_b64 s[4:5], s[4:5], s[6:7]
	s_and_saveexec_b64 s[6:7], s[4:5]
	s_cbranch_execz .LBB56_48
; %bb.29:
	v_mov_b32_e32 v8, s2
	v_mad_u64_u32 v[6:7], s[4:5], s38, v8, v[6:7]
	s_mul_i32 s4, s39, s2
	s_load_dwordx2 s[2:3], s[0:1], 0x78
	v_add_u32_e32 v7, s4, v7
	s_cmp_lg_u32 s16, 1
	v_cmp_neq_f32_e64 s[0:1], s28, 0
	s_cselect_b64 s[4:5], -1, 0
	s_waitcnt lgkmcnt(0)
	v_mul_lo_u32 v10, s3, v6
	v_mul_lo_u32 v11, s2, v7
	v_mad_u64_u32 v[8:9], s[6:7], s2, v6, 0
	v_add3_u32 v9, v9, v11, v10
	v_lshl_add_u64 v[8:9], v[8:9], 2, s[30:31]
	v_lshl_add_u64 v[6:7], v[6:7], 2, s[30:31]
	v_cmp_gt_i64_e32 vcc, s[14:15], v[4:5]
	s_and_saveexec_b64 s[6:7], vcc
	s_cbranch_execz .LBB56_41
; %bb.30:
	s_mov_b64 s[8:9], -1
	s_and_b64 vcc, exec, s[0:1]
	s_cbranch_vccz .LBB56_36
; %bb.31:
	s_and_b64 vcc, exec, s[4:5]
	s_cbranch_vccz .LBB56_33
; %bb.32:
	v_lshl_add_u64 v[10:11], v[4:5], 2, v[8:9]
	global_load_dword v12, v[10:11], off
	v_mul_f32_e32 v13, s18, v0
	s_mov_b64 s[8:9], 0
	s_waitcnt vmcnt(0)
	v_fmac_f32_e32 v13, s28, v12
	global_store_dword v[10:11], v13, off
.LBB56_33:
	s_andn2_b64 vcc, exec, s[8:9]
	s_cbranch_vccnz .LBB56_35
; %bb.34:
	v_mad_u64_u32 v[10:11], s[8:9], s2, v4, 0
	v_mov_b32_e32 v12, v11
	v_mad_u64_u32 v[12:13], s[8:9], s3, v4, v[12:13]
	v_mov_b32_e32 v11, v12
	v_lshl_add_u64 v[10:11], v[10:11], 2, v[6:7]
	global_load_dword v12, v[10:11], off
	v_mul_f32_e32 v13, s18, v0
	s_waitcnt vmcnt(0)
	v_fmac_f32_e32 v13, s28, v12
	global_store_dword v[10:11], v13, off
.LBB56_35:
	s_mov_b64 s[8:9], 0
.LBB56_36:
	s_andn2_b64 vcc, exec, s[8:9]
	s_cbranch_vccnz .LBB56_41
; %bb.37:
	v_mul_f32_e32 v0, s18, v0
	s_mov_b64 s[8:9], -1
	s_and_b64 vcc, exec, s[4:5]
	s_cbranch_vccz .LBB56_39
; %bb.38:
	v_lshl_add_u64 v[10:11], v[4:5], 2, v[8:9]
	global_store_dword v[10:11], v0, off
	s_mov_b64 s[8:9], 0
.LBB56_39:
	s_andn2_b64 vcc, exec, s[8:9]
	s_cbranch_vccnz .LBB56_41
; %bb.40:
	v_mad_u64_u32 v[10:11], s[8:9], s2, v4, 0
	v_mov_b32_e32 v12, v11
	v_mad_u64_u32 v[4:5], s[8:9], s3, v4, v[12:13]
	v_mov_b32_e32 v11, v4
	v_lshl_add_u64 v[4:5], v[10:11], 2, v[6:7]
	global_store_dword v[4:5], v0, off
.LBB56_41:
	s_or_b64 exec, exec, s[6:7]
	v_cmp_gt_i64_e32 vcc, s[14:15], v[2:3]
	s_and_b64 exec, exec, vcc
	s_cbranch_execz .LBB56_48
; %bb.42:
	v_cndmask_b32_e64 v0, 0, 1, s[4:5]
	s_andn2_b64 vcc, exec, s[0:1]
	v_cmp_ne_u32_e64 s[0:1], 1, v0
	s_cbranch_vccnz .LBB56_49
; %bb.43:
	s_and_b64 vcc, exec, s[0:1]
	s_mov_b64 s[4:5], -1
	s_cbranch_vccnz .LBB56_45
; %bb.44:
	v_lshl_add_u64 v[4:5], v[2:3], 2, v[8:9]
	global_load_dword v0, v[4:5], off
	v_mul_f32_e32 v10, s18, v1
	s_mov_b64 s[4:5], 0
	s_waitcnt vmcnt(0)
	v_fmac_f32_e32 v10, s28, v0
	global_store_dword v[4:5], v10, off
.LBB56_45:
	s_andn2_b64 vcc, exec, s[4:5]
	s_cbranch_vccnz .LBB56_47
; %bb.46:
	v_mad_u64_u32 v[4:5], s[4:5], s2, v2, 0
	v_mov_b32_e32 v0, v5
	v_mad_u64_u32 v[10:11], s[4:5], s3, v2, v[0:1]
	v_mov_b32_e32 v5, v10
	v_lshl_add_u64 v[4:5], v[4:5], 2, v[6:7]
	global_load_dword v0, v[4:5], off
	v_mul_f32_e32 v10, s18, v1
	s_waitcnt vmcnt(0)
	v_fmac_f32_e32 v10, s28, v0
	global_store_dword v[4:5], v10, off
.LBB56_47:
	s_cbranch_execz .LBB56_50
.LBB56_48:
	s_endpgm
.LBB56_49:
.LBB56_50:
	v_mul_f32_e32 v0, s18, v1
	s_and_b64 vcc, exec, s[0:1]
	s_mov_b64 s[0:1], -1
	s_cbranch_vccnz .LBB56_52
; %bb.51:
	v_lshl_add_u64 v[4:5], v[2:3], 2, v[8:9]
	s_mov_b64 s[0:1], 0
	global_store_dword v[4:5], v0, off
.LBB56_52:
	s_andn2_b64 vcc, exec, s[0:1]
	s_cbranch_vccnz .LBB56_48
; %bb.53:
	v_mad_u64_u32 v[4:5], s[0:1], s2, v2, 0
	v_mov_b32_e32 v8, v5
	v_mad_u64_u32 v[2:3], s[0:1], s3, v2, v[8:9]
	v_mov_b32_e32 v5, v2
	v_lshl_add_u64 v[2:3], v[4:5], 2, v[6:7]
	global_store_dword v[2:3], v0, off
	s_endpgm
	.section	.rodata,"a",@progbits
	.p2align	6, 0x0
	.amdhsa_kernel _ZN9rocsparseL31bsrmm_large_blockdim_kernel_extILj8ELj8ELj2EllDF16_DF16_ffEEvb20rocsparse_direction_T3_S2_llNS_24const_host_device_scalarIT7_EEPKT2_PKS2_PKT4_S2_PKT5_llS5_PT6_ll16rocsparse_order_21rocsparse_index_base_b
		.amdhsa_group_segment_fixed_size 768
		.amdhsa_private_segment_fixed_size 0
		.amdhsa_kernarg_size 148
		.amdhsa_user_sgpr_count 2
		.amdhsa_user_sgpr_dispatch_ptr 0
		.amdhsa_user_sgpr_queue_ptr 0
		.amdhsa_user_sgpr_kernarg_segment_ptr 1
		.amdhsa_user_sgpr_dispatch_id 0
		.amdhsa_user_sgpr_kernarg_preload_length 0
		.amdhsa_user_sgpr_kernarg_preload_offset 0
		.amdhsa_user_sgpr_private_segment_size 0
		.amdhsa_uses_dynamic_stack 0
		.amdhsa_enable_private_segment 0
		.amdhsa_system_sgpr_workgroup_id_x 1
		.amdhsa_system_sgpr_workgroup_id_y 1
		.amdhsa_system_sgpr_workgroup_id_z 0
		.amdhsa_system_sgpr_workgroup_info 0
		.amdhsa_system_vgpr_workitem_id 1
		.amdhsa_next_free_vgpr 30
		.amdhsa_next_free_sgpr 50
		.amdhsa_accum_offset 32
		.amdhsa_reserve_vcc 1
		.amdhsa_float_round_mode_32 0
		.amdhsa_float_round_mode_16_64 0
		.amdhsa_float_denorm_mode_32 3
		.amdhsa_float_denorm_mode_16_64 3
		.amdhsa_dx10_clamp 1
		.amdhsa_ieee_mode 1
		.amdhsa_fp16_overflow 0
		.amdhsa_tg_split 0
		.amdhsa_exception_fp_ieee_invalid_op 0
		.amdhsa_exception_fp_denorm_src 0
		.amdhsa_exception_fp_ieee_div_zero 0
		.amdhsa_exception_fp_ieee_overflow 0
		.amdhsa_exception_fp_ieee_underflow 0
		.amdhsa_exception_fp_ieee_inexact 0
		.amdhsa_exception_int_div_zero 0
	.end_amdhsa_kernel
	.section	.text._ZN9rocsparseL31bsrmm_large_blockdim_kernel_extILj8ELj8ELj2EllDF16_DF16_ffEEvb20rocsparse_direction_T3_S2_llNS_24const_host_device_scalarIT7_EEPKT2_PKS2_PKT4_S2_PKT5_llS5_PT6_ll16rocsparse_order_21rocsparse_index_base_b,"axG",@progbits,_ZN9rocsparseL31bsrmm_large_blockdim_kernel_extILj8ELj8ELj2EllDF16_DF16_ffEEvb20rocsparse_direction_T3_S2_llNS_24const_host_device_scalarIT7_EEPKT2_PKS2_PKT4_S2_PKT5_llS5_PT6_ll16rocsparse_order_21rocsparse_index_base_b,comdat
.Lfunc_end56:
	.size	_ZN9rocsparseL31bsrmm_large_blockdim_kernel_extILj8ELj8ELj2EllDF16_DF16_ffEEvb20rocsparse_direction_T3_S2_llNS_24const_host_device_scalarIT7_EEPKT2_PKS2_PKT4_S2_PKT5_llS5_PT6_ll16rocsparse_order_21rocsparse_index_base_b, .Lfunc_end56-_ZN9rocsparseL31bsrmm_large_blockdim_kernel_extILj8ELj8ELj2EllDF16_DF16_ffEEvb20rocsparse_direction_T3_S2_llNS_24const_host_device_scalarIT7_EEPKT2_PKS2_PKT4_S2_PKT5_llS5_PT6_ll16rocsparse_order_21rocsparse_index_base_b
                                        ; -- End function
	.set _ZN9rocsparseL31bsrmm_large_blockdim_kernel_extILj8ELj8ELj2EllDF16_DF16_ffEEvb20rocsparse_direction_T3_S2_llNS_24const_host_device_scalarIT7_EEPKT2_PKS2_PKT4_S2_PKT5_llS5_PT6_ll16rocsparse_order_21rocsparse_index_base_b.num_vgpr, 30
	.set _ZN9rocsparseL31bsrmm_large_blockdim_kernel_extILj8ELj8ELj2EllDF16_DF16_ffEEvb20rocsparse_direction_T3_S2_llNS_24const_host_device_scalarIT7_EEPKT2_PKS2_PKT4_S2_PKT5_llS5_PT6_ll16rocsparse_order_21rocsparse_index_base_b.num_agpr, 0
	.set _ZN9rocsparseL31bsrmm_large_blockdim_kernel_extILj8ELj8ELj2EllDF16_DF16_ffEEvb20rocsparse_direction_T3_S2_llNS_24const_host_device_scalarIT7_EEPKT2_PKS2_PKT4_S2_PKT5_llS5_PT6_ll16rocsparse_order_21rocsparse_index_base_b.numbered_sgpr, 50
	.set _ZN9rocsparseL31bsrmm_large_blockdim_kernel_extILj8ELj8ELj2EllDF16_DF16_ffEEvb20rocsparse_direction_T3_S2_llNS_24const_host_device_scalarIT7_EEPKT2_PKS2_PKT4_S2_PKT5_llS5_PT6_ll16rocsparse_order_21rocsparse_index_base_b.num_named_barrier, 0
	.set _ZN9rocsparseL31bsrmm_large_blockdim_kernel_extILj8ELj8ELj2EllDF16_DF16_ffEEvb20rocsparse_direction_T3_S2_llNS_24const_host_device_scalarIT7_EEPKT2_PKS2_PKT4_S2_PKT5_llS5_PT6_ll16rocsparse_order_21rocsparse_index_base_b.private_seg_size, 0
	.set _ZN9rocsparseL31bsrmm_large_blockdim_kernel_extILj8ELj8ELj2EllDF16_DF16_ffEEvb20rocsparse_direction_T3_S2_llNS_24const_host_device_scalarIT7_EEPKT2_PKS2_PKT4_S2_PKT5_llS5_PT6_ll16rocsparse_order_21rocsparse_index_base_b.uses_vcc, 1
	.set _ZN9rocsparseL31bsrmm_large_blockdim_kernel_extILj8ELj8ELj2EllDF16_DF16_ffEEvb20rocsparse_direction_T3_S2_llNS_24const_host_device_scalarIT7_EEPKT2_PKS2_PKT4_S2_PKT5_llS5_PT6_ll16rocsparse_order_21rocsparse_index_base_b.uses_flat_scratch, 0
	.set _ZN9rocsparseL31bsrmm_large_blockdim_kernel_extILj8ELj8ELj2EllDF16_DF16_ffEEvb20rocsparse_direction_T3_S2_llNS_24const_host_device_scalarIT7_EEPKT2_PKS2_PKT4_S2_PKT5_llS5_PT6_ll16rocsparse_order_21rocsparse_index_base_b.has_dyn_sized_stack, 0
	.set _ZN9rocsparseL31bsrmm_large_blockdim_kernel_extILj8ELj8ELj2EllDF16_DF16_ffEEvb20rocsparse_direction_T3_S2_llNS_24const_host_device_scalarIT7_EEPKT2_PKS2_PKT4_S2_PKT5_llS5_PT6_ll16rocsparse_order_21rocsparse_index_base_b.has_recursion, 0
	.set _ZN9rocsparseL31bsrmm_large_blockdim_kernel_extILj8ELj8ELj2EllDF16_DF16_ffEEvb20rocsparse_direction_T3_S2_llNS_24const_host_device_scalarIT7_EEPKT2_PKS2_PKT4_S2_PKT5_llS5_PT6_ll16rocsparse_order_21rocsparse_index_base_b.has_indirect_call, 0
	.section	.AMDGPU.csdata,"",@progbits
; Kernel info:
; codeLenInByte = 1784
; TotalNumSgprs: 56
; NumVgprs: 30
; NumAgprs: 0
; TotalNumVgprs: 30
; ScratchSize: 0
; MemoryBound: 0
; FloatMode: 240
; IeeeMode: 1
; LDSByteSize: 768 bytes/workgroup (compile time only)
; SGPRBlocks: 6
; VGPRBlocks: 3
; NumSGPRsForWavesPerEU: 56
; NumVGPRsForWavesPerEU: 30
; AccumOffset: 32
; Occupancy: 8
; WaveLimiterHint : 1
; COMPUTE_PGM_RSRC2:SCRATCH_EN: 0
; COMPUTE_PGM_RSRC2:USER_SGPR: 2
; COMPUTE_PGM_RSRC2:TRAP_HANDLER: 0
; COMPUTE_PGM_RSRC2:TGID_X_EN: 1
; COMPUTE_PGM_RSRC2:TGID_Y_EN: 1
; COMPUTE_PGM_RSRC2:TGID_Z_EN: 0
; COMPUTE_PGM_RSRC2:TIDIG_COMP_CNT: 1
; COMPUTE_PGM_RSRC3_GFX90A:ACCUM_OFFSET: 7
; COMPUTE_PGM_RSRC3_GFX90A:TG_SPLIT: 0
	.section	.text._ZN9rocsparseL31bsrmm_large_blockdim_kernel_extILj4ELj16ELj2EllDF16_DF16_ffEEvb20rocsparse_direction_T3_S2_llNS_24const_host_device_scalarIT7_EEPKT2_PKS2_PKT4_S2_PKT5_llS5_PT6_ll16rocsparse_order_21rocsparse_index_base_b,"axG",@progbits,_ZN9rocsparseL31bsrmm_large_blockdim_kernel_extILj4ELj16ELj2EllDF16_DF16_ffEEvb20rocsparse_direction_T3_S2_llNS_24const_host_device_scalarIT7_EEPKT2_PKS2_PKT4_S2_PKT5_llS5_PT6_ll16rocsparse_order_21rocsparse_index_base_b,comdat
	.globl	_ZN9rocsparseL31bsrmm_large_blockdim_kernel_extILj4ELj16ELj2EllDF16_DF16_ffEEvb20rocsparse_direction_T3_S2_llNS_24const_host_device_scalarIT7_EEPKT2_PKS2_PKT4_S2_PKT5_llS5_PT6_ll16rocsparse_order_21rocsparse_index_base_b ; -- Begin function _ZN9rocsparseL31bsrmm_large_blockdim_kernel_extILj4ELj16ELj2EllDF16_DF16_ffEEvb20rocsparse_direction_T3_S2_llNS_24const_host_device_scalarIT7_EEPKT2_PKS2_PKT4_S2_PKT5_llS5_PT6_ll16rocsparse_order_21rocsparse_index_base_b
	.p2align	8
	.type	_ZN9rocsparseL31bsrmm_large_blockdim_kernel_extILj4ELj16ELj2EllDF16_DF16_ffEEvb20rocsparse_direction_T3_S2_llNS_24const_host_device_scalarIT7_EEPKT2_PKS2_PKT4_S2_PKT5_llS5_PT6_ll16rocsparse_order_21rocsparse_index_base_b,@function
_ZN9rocsparseL31bsrmm_large_blockdim_kernel_extILj4ELj16ELj2EllDF16_DF16_ffEEvb20rocsparse_direction_T3_S2_llNS_24const_host_device_scalarIT7_EEPKT2_PKS2_PKT4_S2_PKT5_llS5_PT6_ll16rocsparse_order_21rocsparse_index_base_b: ; @_ZN9rocsparseL31bsrmm_large_blockdim_kernel_extILj4ELj16ELj2EllDF16_DF16_ffEEvb20rocsparse_direction_T3_S2_llNS_24const_host_device_scalarIT7_EEPKT2_PKS2_PKT4_S2_PKT5_llS5_PT6_ll16rocsparse_order_21rocsparse_index_base_b
; %bb.0:
	s_load_dwordx4 s[16:19], s[0:1], 0x88
	s_mov_b32 s6, s3
	s_waitcnt lgkmcnt(0)
	s_bitcmp1_b32 s18, 0
	s_load_dwordx2 s[18:19], s[0:1], 0x28
	s_load_dwordx2 s[28:29], s[0:1], 0x68
	s_cselect_b64 s[8:9], -1, 0
	s_xor_b64 s[4:5], s[8:9], -1
	s_and_b64 vcc, exec, s[8:9]
	s_cbranch_vccnz .LBB57_2
; %bb.1:
	s_waitcnt lgkmcnt(0)
	s_load_dword s18, s[18:19], 0x0
.LBB57_2:
	s_andn2_b64 vcc, exec, s[4:5]
	s_cbranch_vccnz .LBB57_4
; %bb.3:
	s_waitcnt lgkmcnt(0)
	s_load_dword s28, s[28:29], 0x0
.LBB57_4:
	s_waitcnt lgkmcnt(0)
	v_cmp_eq_f32_e64 s[4:5], s18, 0
	v_cmp_eq_f32_e64 s[8:9], s28, 1.0
	s_and_b64 s[4:5], s[4:5], s[8:9]
	s_and_b64 vcc, exec, s[4:5]
	s_cbranch_vccnz .LBB57_48
; %bb.5:
	s_load_dwordx4 s[12:15], s[0:1], 0x8
	s_load_dwordx2 s[8:9], s[0:1], 0x30
	s_ashr_i32 s3, s2, 31
	v_mov_b64_e32 v[2:3], s[2:3]
	s_mov_b64 s[34:35], 0
	s_waitcnt lgkmcnt(0)
	v_cmp_le_i64_e32 vcc, s[12:13], v[2:3]
	v_cmp_gt_i64_e64 s[4:5], s[12:13], v[2:3]
	s_mov_b64 s[36:37], 0
	s_cbranch_vccnz .LBB57_7
; %bb.6:
	s_lshl_b64 s[10:11], s[2:3], 3
	s_add_u32 s10, s8, s10
	s_addc_u32 s11, s9, s11
	s_load_dwordx2 s[10:11], s[10:11], 0x0
	s_waitcnt lgkmcnt(0)
	s_sub_u32 s36, s10, s17
	s_subb_u32 s37, s11, 0
.LBB57_7:
	s_andn2_b64 vcc, exec, s[4:5]
	s_cbranch_vccnz .LBB57_9
; %bb.8:
	s_lshl_b64 s[10:11], s[2:3], 3
	s_add_u32 s8, s8, s10
	s_addc_u32 s9, s9, s11
	s_load_dwordx2 s[8:9], s[8:9], 0x8
	s_waitcnt lgkmcnt(0)
	s_sub_u32 s34, s8, s17
	s_subb_u32 s35, s9, 0
.LBB57_9:
	s_load_dwordx2 s[30:31], s[0:1], 0x70
	s_load_dwordx2 s[38:39], s[0:1], 0x48
	v_bfe_u32 v10, v0, 10, 10
	v_lshl_add_u32 v4, s6, 5, v10
	v_mov_b32_e32 v5, 0
	v_and_b32_e32 v6, 0x3ff, v0
	v_mov_b64_e32 v[0:1], s[34:35]
	v_add_u32_e32 v2, 16, v4
	v_mov_b32_e32 v3, v5
	v_mov_b32_e32 v7, v5
	v_cmp_ge_i64_e32 vcc, s[36:37], v[0:1]
	s_waitcnt lgkmcnt(0)
	v_cmp_gt_i64_e64 s[6:7], s[38:39], v[6:7]
	v_cmp_gt_i64_e64 s[8:9], s[14:15], v[4:5]
	;; [unrolled: 1-line block ×3, first 2 shown]
	s_cbranch_vccnz .LBB57_27
; %bb.10:
	s_load_dwordx4 s[24:27], s[0:1], 0x38
	s_load_dwordx2 s[42:43], s[0:1], 0x0
	s_mul_i32 s3, s38, s39
	s_mul_hi_u32 s12, s38, s38
	v_mov_b32_e32 v11, v5
	s_add_i32 s12, s12, s3
	v_cmp_gt_i64_e32 vcc, s[38:39], v[10:11]
	s_add_i32 s3, s12, s3
	s_and_b64 s[40:41], s[6:7], vcc
	s_waitcnt lgkmcnt(0)
	s_bitcmp1_b32 s42, 0
	s_load_dwordx4 s[20:23], s[0:1], 0x50
	s_cselect_b64 s[12:13], -1, 0
	s_cmp_eq_u32 s43, 0
	v_mad_u64_u32 v[12:13], s[42:43], s38, v10, 0
	v_mov_b32_e32 v14, v13
	v_mad_u64_u32 v[14:15], s[42:43], s39, v10, v[14:15]
	v_mov_b32_e32 v0, 0x200
	v_mov_b32_e32 v13, v14
	v_lshl_add_u32 v18, v10, 2, v0
	v_lshlrev_b32_e32 v0, 1, v6
	v_mov_b32_e32 v1, v5
	v_lshl_add_u64 v[12:13], v[12:13], 1, s[26:27]
	s_waitcnt lgkmcnt(0)
	v_lshl_add_u64 v[8:9], s[20:21], 0, v[0:1]
	v_lshl_add_u64 v[0:1], v[12:13], 0, v[0:1]
	v_mad_u64_u32 v[12:13], s[42:43], s38, v6, 0
	v_mov_b32_e32 v14, v13
	v_mad_u64_u32 v[14:15], s[42:43], s39, v6, v[14:15]
	v_mov_b32_e32 v13, v14
	v_lshlrev_b32_e32 v20, 4, v10
	v_lshl_add_u64 v[12:13], v[12:13], 1, s[26:27]
	v_lshlrev_b32_e32 v10, 1, v10
	v_lshl_add_u64 v[14:15], v[12:13], 0, v[10:11]
	v_mad_u64_u32 v[10:11], s[26:27], s22, v4, 0
	v_mov_b32_e32 v12, v11
	v_mad_u64_u32 v[12:13], s[26:27], s23, v4, v[12:13]
	v_mov_b32_e32 v11, v12
	;; [unrolled: 2-line block ×3, first 2 shown]
	v_lshlrev_b32_e32 v19, 2, v6
	s_cselect_b64 vcc, -1, 0
	v_lshlrev_b32_e32 v23, 4, v6
	v_cmp_gt_i64_e64 s[42:43], s[38:39], 0
	v_mad_u64_u32 v[16:17], s[26:27], s23, v2, v[16:17]
	s_mul_i32 s19, s38, s38
	v_mov_b32_e32 v13, v16
	s_and_b64 s[26:27], s[8:9], s[42:43]
	s_and_b64 s[42:43], s[10:11], s[42:43]
	v_cndmask_b32_e32 v15, v1, v15, vcc
	v_cndmask_b32_e32 v14, v0, v14, vcc
	v_add_u32_e32 v21, 0x200, v23
	v_add_u32_e32 v22, 0x100, v20
	v_mov_b32_e32 v0, v5
	v_mov_b32_e32 v1, v5
	v_add_u32_e32 v23, v18, v23
	v_add_u32_e32 v24, v19, v20
	s_branch .LBB57_13
.LBB57_11:                              ;   in Loop: Header=BB57_13 Depth=1
	s_or_b64 exec, exec, s[46:47]
.LBB57_12:                              ;   in Loop: Header=BB57_13 Depth=1
	s_or_b64 exec, exec, s[44:45]
	s_add_u32 s36, s36, 1
	s_addc_u32 s37, s37, 0
	v_mov_b64_e32 v[16:17], s[34:35]
	v_cmp_ge_i64_e32 vcc, s[36:37], v[16:17]
	; wave barrier
	s_cbranch_vccnz .LBB57_28
.LBB57_13:                              ; =>This Loop Header: Depth=1
                                        ;     Child Loop BB57_23 Depth 2
                                        ;     Child Loop BB57_26 Depth 2
	s_and_saveexec_b64 s[44:45], s[6:7]
	s_cbranch_execz .LBB57_18
; %bb.14:                               ;   in Loop: Header=BB57_13 Depth=1
	s_lshl_b64 s[46:47], s[36:37], 3
	s_add_u32 s46, s24, s46
	s_addc_u32 s47, s25, s47
	s_load_dwordx2 s[46:47], s[46:47], 0x0
	v_mov_b32_e32 v16, s38
	s_waitcnt lgkmcnt(0)
	s_sub_u32 s29, s46, s17
	s_subb_u32 s33, s47, 0
	s_mul_i32 s48, s29, s39
	s_mul_i32 s33, s33, s38
	s_add_i32 s33, s48, s33
	v_mad_u64_u32 v[16:17], s[48:49], s29, v16, v[6:7]
	v_add_u32_e32 v17, s33, v17
	s_mul_hi_u32 s47, s29, s38
	v_mul_lo_u32 v18, v17, s22
	v_mul_lo_u32 v19, v16, s23
	v_mad_u64_u32 v[16:17], s[48:49], v16, s22, 0
	s_mul_i32 s46, s29, s38
	s_add_i32 s47, s33, s47
	v_add3_u32 v17, v17, v19, v18
	v_lshl_add_u64 v[16:17], v[16:17], 1, s[20:21]
	v_lshl_add_u64 v[18:19], s[46:47], 1, v[8:9]
	s_and_saveexec_b64 s[46:47], s[8:9]
	s_cbranch_execz .LBB57_16
; %bb.15:                               ;   in Loop: Header=BB57_13 Depth=1
	v_lshl_add_u64 v[26:27], v[4:5], 1, v[16:17]
	v_lshl_add_u64 v[28:29], v[10:11], 1, v[18:19]
	v_cndmask_b32_e64 v27, v27, v29, s[12:13]
	v_cndmask_b32_e64 v26, v26, v28, s[12:13]
	global_load_ushort v25, v[26:27], off
	s_waitcnt vmcnt(0)
	v_cvt_f32_f16_e32 v25, v25
	ds_write_b32 v24, v25
.LBB57_16:                              ;   in Loop: Header=BB57_13 Depth=1
	s_or_b64 exec, exec, s[46:47]
	s_and_b64 exec, exec, s[10:11]
	s_cbranch_execz .LBB57_18
; %bb.17:                               ;   in Loop: Header=BB57_13 Depth=1
	v_lshl_add_u64 v[18:19], v[12:13], 1, v[18:19]
	v_lshl_add_u64 v[16:17], v[2:3], 1, v[16:17]
	v_cndmask_b32_e64 v17, v17, v19, s[12:13]
	v_cndmask_b32_e64 v16, v16, v18, s[12:13]
	global_load_ushort v16, v[16:17], off
	s_waitcnt vmcnt(0)
	v_cvt_f32_f16_e32 v16, v16
	ds_write_b32 v24, v16 offset:256
.LBB57_18:                              ;   in Loop: Header=BB57_13 Depth=1
	s_or_b64 exec, exec, s[44:45]
	s_and_saveexec_b64 s[44:45], s[40:41]
	s_cbranch_execz .LBB57_20
; %bb.19:                               ;   in Loop: Header=BB57_13 Depth=1
	s_mul_i32 s29, s19, s37
	s_mul_hi_u32 s33, s19, s36
	s_add_i32 s29, s33, s29
	s_mul_i32 s33, s3, s36
	s_add_i32 s47, s29, s33
	s_mul_i32 s46, s19, s36
	v_lshl_add_u64 v[16:17], s[46:47], 1, v[14:15]
	global_load_ushort v16, v[16:17], off
	s_waitcnt vmcnt(0)
	v_cvt_f32_f16_e32 v16, v16
	ds_write_b32 v23, v16
.LBB57_20:                              ;   in Loop: Header=BB57_13 Depth=1
	s_or_b64 exec, exec, s[44:45]
	s_waitcnt lgkmcnt(0)
	; wave barrier
	s_and_saveexec_b64 s[44:45], s[6:7]
	s_cbranch_execz .LBB57_12
; %bb.21:                               ;   in Loop: Header=BB57_13 Depth=1
	s_and_saveexec_b64 s[46:47], s[26:27]
	s_cbranch_execz .LBB57_24
; %bb.22:                               ;   in Loop: Header=BB57_13 Depth=1
	v_mov_b32_e32 v16, v21
	v_mov_b32_e32 v17, v20
	s_mov_b64 s[48:49], s[38:39]
.LBB57_23:                              ;   Parent Loop BB57_13 Depth=1
                                        ; =>  This Inner Loop Header: Depth=2
	ds_read_b32 v18, v16
	ds_read_b32 v19, v17
	s_add_u32 s48, s48, -1
	s_addc_u32 s49, s49, -1
	v_add_u32_e32 v17, 4, v17
	v_add_u32_e32 v16, 4, v16
	s_cmp_lg_u64 s[48:49], 0
	s_waitcnt lgkmcnt(0)
	v_fma_f32 v0, v18, v19, v0
	s_cbranch_scc1 .LBB57_23
.LBB57_24:                              ;   in Loop: Header=BB57_13 Depth=1
	s_or_b64 exec, exec, s[46:47]
	s_and_saveexec_b64 s[46:47], s[42:43]
	s_cbranch_execz .LBB57_11
; %bb.25:                               ;   in Loop: Header=BB57_13 Depth=1
	v_mov_b32_e32 v16, v21
	v_mov_b32_e32 v17, v22
	s_mov_b64 s[48:49], s[38:39]
.LBB57_26:                              ;   Parent Loop BB57_13 Depth=1
                                        ; =>  This Inner Loop Header: Depth=2
	ds_read_b32 v18, v16
	ds_read_b32 v19, v17
	s_add_u32 s48, s48, -1
	s_addc_u32 s49, s49, -1
	v_add_u32_e32 v17, 4, v17
	v_add_u32_e32 v16, 4, v16
	s_cmp_lg_u64 s[48:49], 0
	s_waitcnt lgkmcnt(0)
	v_fma_f32 v1, v18, v19, v1
	s_cbranch_scc1 .LBB57_26
	s_branch .LBB57_11
.LBB57_27:
	v_mov_b32_e32 v0, v5
	v_mov_b32_e32 v1, v5
.LBB57_28:
	s_and_b64 s[4:5], s[4:5], s[6:7]
	s_and_saveexec_b64 s[6:7], s[4:5]
	s_cbranch_execz .LBB57_48
; %bb.29:
	v_mov_b32_e32 v8, s2
	v_mad_u64_u32 v[6:7], s[4:5], s38, v8, v[6:7]
	s_mul_i32 s4, s39, s2
	s_load_dwordx2 s[2:3], s[0:1], 0x78
	v_add_u32_e32 v7, s4, v7
	s_cmp_lg_u32 s16, 1
	v_cmp_neq_f32_e64 s[0:1], s28, 0
	s_cselect_b64 s[4:5], -1, 0
	s_waitcnt lgkmcnt(0)
	v_mul_lo_u32 v10, s3, v6
	v_mul_lo_u32 v11, s2, v7
	v_mad_u64_u32 v[8:9], s[6:7], s2, v6, 0
	v_add3_u32 v9, v9, v11, v10
	v_lshl_add_u64 v[8:9], v[8:9], 2, s[30:31]
	v_lshl_add_u64 v[6:7], v[6:7], 2, s[30:31]
	v_cmp_gt_i64_e32 vcc, s[14:15], v[4:5]
	s_and_saveexec_b64 s[6:7], vcc
	s_cbranch_execz .LBB57_41
; %bb.30:
	s_mov_b64 s[8:9], -1
	s_and_b64 vcc, exec, s[0:1]
	s_cbranch_vccz .LBB57_36
; %bb.31:
	s_and_b64 vcc, exec, s[4:5]
	s_cbranch_vccz .LBB57_33
; %bb.32:
	v_lshl_add_u64 v[10:11], v[4:5], 2, v[8:9]
	global_load_dword v12, v[10:11], off
	v_mul_f32_e32 v13, s18, v0
	s_mov_b64 s[8:9], 0
	s_waitcnt vmcnt(0)
	v_fmac_f32_e32 v13, s28, v12
	global_store_dword v[10:11], v13, off
.LBB57_33:
	s_andn2_b64 vcc, exec, s[8:9]
	s_cbranch_vccnz .LBB57_35
; %bb.34:
	v_mad_u64_u32 v[10:11], s[8:9], s2, v4, 0
	v_mov_b32_e32 v12, v11
	v_mad_u64_u32 v[12:13], s[8:9], s3, v4, v[12:13]
	v_mov_b32_e32 v11, v12
	v_lshl_add_u64 v[10:11], v[10:11], 2, v[6:7]
	global_load_dword v12, v[10:11], off
	v_mul_f32_e32 v13, s18, v0
	s_waitcnt vmcnt(0)
	v_fmac_f32_e32 v13, s28, v12
	global_store_dword v[10:11], v13, off
.LBB57_35:
	s_mov_b64 s[8:9], 0
.LBB57_36:
	s_andn2_b64 vcc, exec, s[8:9]
	s_cbranch_vccnz .LBB57_41
; %bb.37:
	v_mul_f32_e32 v0, s18, v0
	s_mov_b64 s[8:9], -1
	s_and_b64 vcc, exec, s[4:5]
	s_cbranch_vccz .LBB57_39
; %bb.38:
	v_lshl_add_u64 v[10:11], v[4:5], 2, v[8:9]
	global_store_dword v[10:11], v0, off
	s_mov_b64 s[8:9], 0
.LBB57_39:
	s_andn2_b64 vcc, exec, s[8:9]
	s_cbranch_vccnz .LBB57_41
; %bb.40:
	v_mad_u64_u32 v[10:11], s[8:9], s2, v4, 0
	v_mov_b32_e32 v12, v11
	v_mad_u64_u32 v[4:5], s[8:9], s3, v4, v[12:13]
	v_mov_b32_e32 v11, v4
	v_lshl_add_u64 v[4:5], v[10:11], 2, v[6:7]
	global_store_dword v[4:5], v0, off
.LBB57_41:
	s_or_b64 exec, exec, s[6:7]
	v_cmp_gt_i64_e32 vcc, s[14:15], v[2:3]
	s_and_b64 exec, exec, vcc
	s_cbranch_execz .LBB57_48
; %bb.42:
	v_cndmask_b32_e64 v0, 0, 1, s[4:5]
	s_andn2_b64 vcc, exec, s[0:1]
	v_cmp_ne_u32_e64 s[0:1], 1, v0
	s_cbranch_vccnz .LBB57_49
; %bb.43:
	s_and_b64 vcc, exec, s[0:1]
	s_mov_b64 s[4:5], -1
	s_cbranch_vccnz .LBB57_45
; %bb.44:
	v_lshl_add_u64 v[4:5], v[2:3], 2, v[8:9]
	global_load_dword v0, v[4:5], off
	v_mul_f32_e32 v10, s18, v1
	s_mov_b64 s[4:5], 0
	s_waitcnt vmcnt(0)
	v_fmac_f32_e32 v10, s28, v0
	global_store_dword v[4:5], v10, off
.LBB57_45:
	s_andn2_b64 vcc, exec, s[4:5]
	s_cbranch_vccnz .LBB57_47
; %bb.46:
	v_mad_u64_u32 v[4:5], s[4:5], s2, v2, 0
	v_mov_b32_e32 v0, v5
	v_mad_u64_u32 v[10:11], s[4:5], s3, v2, v[0:1]
	v_mov_b32_e32 v5, v10
	v_lshl_add_u64 v[4:5], v[4:5], 2, v[6:7]
	global_load_dword v0, v[4:5], off
	v_mul_f32_e32 v10, s18, v1
	s_waitcnt vmcnt(0)
	v_fmac_f32_e32 v10, s28, v0
	global_store_dword v[4:5], v10, off
.LBB57_47:
	s_cbranch_execz .LBB57_50
.LBB57_48:
	s_endpgm
.LBB57_49:
.LBB57_50:
	v_mul_f32_e32 v0, s18, v1
	s_and_b64 vcc, exec, s[0:1]
	s_mov_b64 s[0:1], -1
	s_cbranch_vccnz .LBB57_52
; %bb.51:
	v_lshl_add_u64 v[4:5], v[2:3], 2, v[8:9]
	s_mov_b64 s[0:1], 0
	global_store_dword v[4:5], v0, off
.LBB57_52:
	s_andn2_b64 vcc, exec, s[0:1]
	s_cbranch_vccnz .LBB57_48
; %bb.53:
	v_mad_u64_u32 v[4:5], s[0:1], s2, v2, 0
	v_mov_b32_e32 v8, v5
	v_mad_u64_u32 v[2:3], s[0:1], s3, v2, v[8:9]
	v_mov_b32_e32 v5, v2
	v_lshl_add_u64 v[2:3], v[4:5], 2, v[6:7]
	global_store_dword v[2:3], v0, off
	s_endpgm
	.section	.rodata,"a",@progbits
	.p2align	6, 0x0
	.amdhsa_kernel _ZN9rocsparseL31bsrmm_large_blockdim_kernel_extILj4ELj16ELj2EllDF16_DF16_ffEEvb20rocsparse_direction_T3_S2_llNS_24const_host_device_scalarIT7_EEPKT2_PKS2_PKT4_S2_PKT5_llS5_PT6_ll16rocsparse_order_21rocsparse_index_base_b
		.amdhsa_group_segment_fixed_size 576
		.amdhsa_private_segment_fixed_size 0
		.amdhsa_kernarg_size 148
		.amdhsa_user_sgpr_count 2
		.amdhsa_user_sgpr_dispatch_ptr 0
		.amdhsa_user_sgpr_queue_ptr 0
		.amdhsa_user_sgpr_kernarg_segment_ptr 1
		.amdhsa_user_sgpr_dispatch_id 0
		.amdhsa_user_sgpr_kernarg_preload_length 0
		.amdhsa_user_sgpr_kernarg_preload_offset 0
		.amdhsa_user_sgpr_private_segment_size 0
		.amdhsa_uses_dynamic_stack 0
		.amdhsa_enable_private_segment 0
		.amdhsa_system_sgpr_workgroup_id_x 1
		.amdhsa_system_sgpr_workgroup_id_y 1
		.amdhsa_system_sgpr_workgroup_id_z 0
		.amdhsa_system_sgpr_workgroup_info 0
		.amdhsa_system_vgpr_workitem_id 1
		.amdhsa_next_free_vgpr 30
		.amdhsa_next_free_sgpr 50
		.amdhsa_accum_offset 32
		.amdhsa_reserve_vcc 1
		.amdhsa_float_round_mode_32 0
		.amdhsa_float_round_mode_16_64 0
		.amdhsa_float_denorm_mode_32 3
		.amdhsa_float_denorm_mode_16_64 3
		.amdhsa_dx10_clamp 1
		.amdhsa_ieee_mode 1
		.amdhsa_fp16_overflow 0
		.amdhsa_tg_split 0
		.amdhsa_exception_fp_ieee_invalid_op 0
		.amdhsa_exception_fp_denorm_src 0
		.amdhsa_exception_fp_ieee_div_zero 0
		.amdhsa_exception_fp_ieee_overflow 0
		.amdhsa_exception_fp_ieee_underflow 0
		.amdhsa_exception_fp_ieee_inexact 0
		.amdhsa_exception_int_div_zero 0
	.end_amdhsa_kernel
	.section	.text._ZN9rocsparseL31bsrmm_large_blockdim_kernel_extILj4ELj16ELj2EllDF16_DF16_ffEEvb20rocsparse_direction_T3_S2_llNS_24const_host_device_scalarIT7_EEPKT2_PKS2_PKT4_S2_PKT5_llS5_PT6_ll16rocsparse_order_21rocsparse_index_base_b,"axG",@progbits,_ZN9rocsparseL31bsrmm_large_blockdim_kernel_extILj4ELj16ELj2EllDF16_DF16_ffEEvb20rocsparse_direction_T3_S2_llNS_24const_host_device_scalarIT7_EEPKT2_PKS2_PKT4_S2_PKT5_llS5_PT6_ll16rocsparse_order_21rocsparse_index_base_b,comdat
.Lfunc_end57:
	.size	_ZN9rocsparseL31bsrmm_large_blockdim_kernel_extILj4ELj16ELj2EllDF16_DF16_ffEEvb20rocsparse_direction_T3_S2_llNS_24const_host_device_scalarIT7_EEPKT2_PKS2_PKT4_S2_PKT5_llS5_PT6_ll16rocsparse_order_21rocsparse_index_base_b, .Lfunc_end57-_ZN9rocsparseL31bsrmm_large_blockdim_kernel_extILj4ELj16ELj2EllDF16_DF16_ffEEvb20rocsparse_direction_T3_S2_llNS_24const_host_device_scalarIT7_EEPKT2_PKS2_PKT4_S2_PKT5_llS5_PT6_ll16rocsparse_order_21rocsparse_index_base_b
                                        ; -- End function
	.set _ZN9rocsparseL31bsrmm_large_blockdim_kernel_extILj4ELj16ELj2EllDF16_DF16_ffEEvb20rocsparse_direction_T3_S2_llNS_24const_host_device_scalarIT7_EEPKT2_PKS2_PKT4_S2_PKT5_llS5_PT6_ll16rocsparse_order_21rocsparse_index_base_b.num_vgpr, 30
	.set _ZN9rocsparseL31bsrmm_large_blockdim_kernel_extILj4ELj16ELj2EllDF16_DF16_ffEEvb20rocsparse_direction_T3_S2_llNS_24const_host_device_scalarIT7_EEPKT2_PKS2_PKT4_S2_PKT5_llS5_PT6_ll16rocsparse_order_21rocsparse_index_base_b.num_agpr, 0
	.set _ZN9rocsparseL31bsrmm_large_blockdim_kernel_extILj4ELj16ELj2EllDF16_DF16_ffEEvb20rocsparse_direction_T3_S2_llNS_24const_host_device_scalarIT7_EEPKT2_PKS2_PKT4_S2_PKT5_llS5_PT6_ll16rocsparse_order_21rocsparse_index_base_b.numbered_sgpr, 50
	.set _ZN9rocsparseL31bsrmm_large_blockdim_kernel_extILj4ELj16ELj2EllDF16_DF16_ffEEvb20rocsparse_direction_T3_S2_llNS_24const_host_device_scalarIT7_EEPKT2_PKS2_PKT4_S2_PKT5_llS5_PT6_ll16rocsparse_order_21rocsparse_index_base_b.num_named_barrier, 0
	.set _ZN9rocsparseL31bsrmm_large_blockdim_kernel_extILj4ELj16ELj2EllDF16_DF16_ffEEvb20rocsparse_direction_T3_S2_llNS_24const_host_device_scalarIT7_EEPKT2_PKS2_PKT4_S2_PKT5_llS5_PT6_ll16rocsparse_order_21rocsparse_index_base_b.private_seg_size, 0
	.set _ZN9rocsparseL31bsrmm_large_blockdim_kernel_extILj4ELj16ELj2EllDF16_DF16_ffEEvb20rocsparse_direction_T3_S2_llNS_24const_host_device_scalarIT7_EEPKT2_PKS2_PKT4_S2_PKT5_llS5_PT6_ll16rocsparse_order_21rocsparse_index_base_b.uses_vcc, 1
	.set _ZN9rocsparseL31bsrmm_large_blockdim_kernel_extILj4ELj16ELj2EllDF16_DF16_ffEEvb20rocsparse_direction_T3_S2_llNS_24const_host_device_scalarIT7_EEPKT2_PKS2_PKT4_S2_PKT5_llS5_PT6_ll16rocsparse_order_21rocsparse_index_base_b.uses_flat_scratch, 0
	.set _ZN9rocsparseL31bsrmm_large_blockdim_kernel_extILj4ELj16ELj2EllDF16_DF16_ffEEvb20rocsparse_direction_T3_S2_llNS_24const_host_device_scalarIT7_EEPKT2_PKS2_PKT4_S2_PKT5_llS5_PT6_ll16rocsparse_order_21rocsparse_index_base_b.has_dyn_sized_stack, 0
	.set _ZN9rocsparseL31bsrmm_large_blockdim_kernel_extILj4ELj16ELj2EllDF16_DF16_ffEEvb20rocsparse_direction_T3_S2_llNS_24const_host_device_scalarIT7_EEPKT2_PKS2_PKT4_S2_PKT5_llS5_PT6_ll16rocsparse_order_21rocsparse_index_base_b.has_recursion, 0
	.set _ZN9rocsparseL31bsrmm_large_blockdim_kernel_extILj4ELj16ELj2EllDF16_DF16_ffEEvb20rocsparse_direction_T3_S2_llNS_24const_host_device_scalarIT7_EEPKT2_PKS2_PKT4_S2_PKT5_llS5_PT6_ll16rocsparse_order_21rocsparse_index_base_b.has_indirect_call, 0
	.section	.AMDGPU.csdata,"",@progbits
; Kernel info:
; codeLenInByte = 1784
; TotalNumSgprs: 56
; NumVgprs: 30
; NumAgprs: 0
; TotalNumVgprs: 30
; ScratchSize: 0
; MemoryBound: 0
; FloatMode: 240
; IeeeMode: 1
; LDSByteSize: 576 bytes/workgroup (compile time only)
; SGPRBlocks: 6
; VGPRBlocks: 3
; NumSGPRsForWavesPerEU: 56
; NumVGPRsForWavesPerEU: 30
; AccumOffset: 32
; Occupancy: 8
; WaveLimiterHint : 1
; COMPUTE_PGM_RSRC2:SCRATCH_EN: 0
; COMPUTE_PGM_RSRC2:USER_SGPR: 2
; COMPUTE_PGM_RSRC2:TRAP_HANDLER: 0
; COMPUTE_PGM_RSRC2:TGID_X_EN: 1
; COMPUTE_PGM_RSRC2:TGID_Y_EN: 1
; COMPUTE_PGM_RSRC2:TGID_Z_EN: 0
; COMPUTE_PGM_RSRC2:TIDIG_COMP_CNT: 1
; COMPUTE_PGM_RSRC3_GFX90A:ACCUM_OFFSET: 7
; COMPUTE_PGM_RSRC3_GFX90A:TG_SPLIT: 0
	.section	.text._ZN9rocsparseL31bsrmm_large_blockdim_kernel_extILj16ELj16ELj2EllDF16_DF16_ffEEvb20rocsparse_direction_T3_S2_llNS_24const_host_device_scalarIT7_EEPKT2_PKS2_PKT4_S2_PKT5_llS5_PT6_ll16rocsparse_order_21rocsparse_index_base_b,"axG",@progbits,_ZN9rocsparseL31bsrmm_large_blockdim_kernel_extILj16ELj16ELj2EllDF16_DF16_ffEEvb20rocsparse_direction_T3_S2_llNS_24const_host_device_scalarIT7_EEPKT2_PKS2_PKT4_S2_PKT5_llS5_PT6_ll16rocsparse_order_21rocsparse_index_base_b,comdat
	.globl	_ZN9rocsparseL31bsrmm_large_blockdim_kernel_extILj16ELj16ELj2EllDF16_DF16_ffEEvb20rocsparse_direction_T3_S2_llNS_24const_host_device_scalarIT7_EEPKT2_PKS2_PKT4_S2_PKT5_llS5_PT6_ll16rocsparse_order_21rocsparse_index_base_b ; -- Begin function _ZN9rocsparseL31bsrmm_large_blockdim_kernel_extILj16ELj16ELj2EllDF16_DF16_ffEEvb20rocsparse_direction_T3_S2_llNS_24const_host_device_scalarIT7_EEPKT2_PKS2_PKT4_S2_PKT5_llS5_PT6_ll16rocsparse_order_21rocsparse_index_base_b
	.p2align	8
	.type	_ZN9rocsparseL31bsrmm_large_blockdim_kernel_extILj16ELj16ELj2EllDF16_DF16_ffEEvb20rocsparse_direction_T3_S2_llNS_24const_host_device_scalarIT7_EEPKT2_PKS2_PKT4_S2_PKT5_llS5_PT6_ll16rocsparse_order_21rocsparse_index_base_b,@function
_ZN9rocsparseL31bsrmm_large_blockdim_kernel_extILj16ELj16ELj2EllDF16_DF16_ffEEvb20rocsparse_direction_T3_S2_llNS_24const_host_device_scalarIT7_EEPKT2_PKS2_PKT4_S2_PKT5_llS5_PT6_ll16rocsparse_order_21rocsparse_index_base_b: ; @_ZN9rocsparseL31bsrmm_large_blockdim_kernel_extILj16ELj16ELj2EllDF16_DF16_ffEEvb20rocsparse_direction_T3_S2_llNS_24const_host_device_scalarIT7_EEPKT2_PKS2_PKT4_S2_PKT5_llS5_PT6_ll16rocsparse_order_21rocsparse_index_base_b
; %bb.0:
	s_load_dwordx4 s[16:19], s[0:1], 0x88
	s_mov_b32 s6, s3
	s_waitcnt lgkmcnt(0)
	s_bitcmp1_b32 s18, 0
	s_load_dwordx2 s[18:19], s[0:1], 0x28
	s_load_dwordx2 s[28:29], s[0:1], 0x68
	s_cselect_b64 s[8:9], -1, 0
	s_xor_b64 s[4:5], s[8:9], -1
	s_and_b64 vcc, exec, s[8:9]
	s_cbranch_vccnz .LBB58_2
; %bb.1:
	s_waitcnt lgkmcnt(0)
	s_load_dword s18, s[18:19], 0x0
.LBB58_2:
	s_andn2_b64 vcc, exec, s[4:5]
	s_cbranch_vccnz .LBB58_4
; %bb.3:
	s_waitcnt lgkmcnt(0)
	s_load_dword s28, s[28:29], 0x0
.LBB58_4:
	s_waitcnt lgkmcnt(0)
	v_cmp_eq_f32_e64 s[4:5], s18, 0
	v_cmp_eq_f32_e64 s[8:9], s28, 1.0
	s_and_b64 s[4:5], s[4:5], s[8:9]
	s_and_b64 vcc, exec, s[4:5]
	s_cbranch_vccnz .LBB58_48
; %bb.5:
	s_load_dwordx4 s[12:15], s[0:1], 0x8
	s_load_dwordx2 s[8:9], s[0:1], 0x30
	s_ashr_i32 s3, s2, 31
	v_mov_b64_e32 v[2:3], s[2:3]
	s_mov_b64 s[34:35], 0
	s_waitcnt lgkmcnt(0)
	v_cmp_le_i64_e32 vcc, s[12:13], v[2:3]
	v_cmp_gt_i64_e64 s[4:5], s[12:13], v[2:3]
	s_mov_b64 s[36:37], 0
	s_cbranch_vccnz .LBB58_7
; %bb.6:
	s_lshl_b64 s[10:11], s[2:3], 3
	s_add_u32 s10, s8, s10
	s_addc_u32 s11, s9, s11
	s_load_dwordx2 s[10:11], s[10:11], 0x0
	s_waitcnt lgkmcnt(0)
	s_sub_u32 s36, s10, s17
	s_subb_u32 s37, s11, 0
.LBB58_7:
	s_andn2_b64 vcc, exec, s[4:5]
	s_cbranch_vccnz .LBB58_9
; %bb.8:
	s_lshl_b64 s[10:11], s[2:3], 3
	s_add_u32 s8, s8, s10
	s_addc_u32 s9, s9, s11
	s_load_dwordx2 s[8:9], s[8:9], 0x8
	s_waitcnt lgkmcnt(0)
	s_sub_u32 s34, s8, s17
	s_subb_u32 s35, s9, 0
.LBB58_9:
	s_load_dwordx2 s[30:31], s[0:1], 0x70
	s_load_dwordx2 s[38:39], s[0:1], 0x48
	v_bfe_u32 v10, v0, 10, 10
	v_lshl_add_u32 v4, s6, 5, v10
	v_mov_b32_e32 v5, 0
	v_and_b32_e32 v6, 0x3ff, v0
	v_mov_b64_e32 v[0:1], s[34:35]
	v_add_u32_e32 v2, 16, v4
	v_mov_b32_e32 v3, v5
	v_mov_b32_e32 v7, v5
	v_cmp_ge_i64_e32 vcc, s[36:37], v[0:1]
	s_waitcnt lgkmcnt(0)
	v_cmp_gt_i64_e64 s[6:7], s[38:39], v[6:7]
	v_cmp_gt_i64_e64 s[8:9], s[14:15], v[4:5]
	;; [unrolled: 1-line block ×3, first 2 shown]
	s_cbranch_vccnz .LBB58_27
; %bb.10:
	s_load_dwordx4 s[24:27], s[0:1], 0x38
	s_load_dwordx2 s[42:43], s[0:1], 0x0
	s_mul_i32 s3, s38, s39
	s_mul_hi_u32 s12, s38, s38
	v_mov_b32_e32 v11, v5
	s_add_i32 s12, s12, s3
	v_cmp_gt_i64_e32 vcc, s[38:39], v[10:11]
	s_add_i32 s3, s12, s3
	s_and_b64 s[40:41], s[6:7], vcc
	s_waitcnt lgkmcnt(0)
	s_bitcmp1_b32 s42, 0
	s_load_dwordx4 s[20:23], s[0:1], 0x50
	s_cselect_b64 s[12:13], -1, 0
	s_cmp_eq_u32 s43, 0
	v_mad_u64_u32 v[12:13], s[42:43], s38, v10, 0
	v_mov_b32_e32 v14, v13
	v_mad_u64_u32 v[14:15], s[42:43], s39, v10, v[14:15]
	v_mov_b32_e32 v0, 0x800
	v_mov_b32_e32 v13, v14
	v_lshl_add_u32 v18, v10, 2, v0
	v_lshlrev_b32_e32 v0, 1, v6
	v_mov_b32_e32 v1, v5
	v_lshl_add_u64 v[12:13], v[12:13], 1, s[26:27]
	s_waitcnt lgkmcnt(0)
	v_lshl_add_u64 v[8:9], s[20:21], 0, v[0:1]
	v_lshl_add_u64 v[0:1], v[12:13], 0, v[0:1]
	v_mad_u64_u32 v[12:13], s[42:43], s38, v6, 0
	v_mov_b32_e32 v14, v13
	v_mad_u64_u32 v[14:15], s[42:43], s39, v6, v[14:15]
	v_mov_b32_e32 v13, v14
	v_lshlrev_b32_e32 v20, 6, v10
	v_lshl_add_u64 v[12:13], v[12:13], 1, s[26:27]
	v_lshlrev_b32_e32 v10, 1, v10
	v_lshl_add_u64 v[14:15], v[12:13], 0, v[10:11]
	v_mad_u64_u32 v[10:11], s[26:27], s22, v4, 0
	v_mov_b32_e32 v12, v11
	v_mad_u64_u32 v[12:13], s[26:27], s23, v4, v[12:13]
	v_mov_b32_e32 v11, v12
	;; [unrolled: 2-line block ×3, first 2 shown]
	v_lshlrev_b32_e32 v19, 2, v6
	s_cselect_b64 vcc, -1, 0
	v_lshlrev_b32_e32 v23, 6, v6
	v_cmp_gt_i64_e64 s[42:43], s[38:39], 0
	v_mad_u64_u32 v[16:17], s[26:27], s23, v2, v[16:17]
	s_mul_i32 s19, s38, s38
	v_mov_b32_e32 v13, v16
	s_and_b64 s[26:27], s[8:9], s[42:43]
	s_and_b64 s[42:43], s[10:11], s[42:43]
	v_cndmask_b32_e32 v15, v1, v15, vcc
	v_cndmask_b32_e32 v14, v0, v14, vcc
	v_add_u32_e32 v21, 0x800, v23
	v_add_u32_e32 v22, 0x400, v20
	v_mov_b32_e32 v0, v5
	v_mov_b32_e32 v1, v5
	v_add_u32_e32 v23, v18, v23
	v_add_u32_e32 v24, v19, v20
	s_branch .LBB58_13
.LBB58_11:                              ;   in Loop: Header=BB58_13 Depth=1
	s_or_b64 exec, exec, s[46:47]
.LBB58_12:                              ;   in Loop: Header=BB58_13 Depth=1
	s_or_b64 exec, exec, s[44:45]
	s_add_u32 s36, s36, 1
	s_addc_u32 s37, s37, 0
	v_mov_b64_e32 v[16:17], s[34:35]
	v_cmp_ge_i64_e32 vcc, s[36:37], v[16:17]
	s_barrier
	s_cbranch_vccnz .LBB58_28
.LBB58_13:                              ; =>This Loop Header: Depth=1
                                        ;     Child Loop BB58_23 Depth 2
                                        ;     Child Loop BB58_26 Depth 2
	s_and_saveexec_b64 s[44:45], s[6:7]
	s_cbranch_execz .LBB58_18
; %bb.14:                               ;   in Loop: Header=BB58_13 Depth=1
	s_lshl_b64 s[46:47], s[36:37], 3
	s_add_u32 s46, s24, s46
	s_addc_u32 s47, s25, s47
	s_load_dwordx2 s[46:47], s[46:47], 0x0
	v_mov_b32_e32 v16, s38
	s_waitcnt lgkmcnt(0)
	s_sub_u32 s29, s46, s17
	s_subb_u32 s33, s47, 0
	s_mul_i32 s48, s29, s39
	s_mul_i32 s33, s33, s38
	s_add_i32 s33, s48, s33
	v_mad_u64_u32 v[16:17], s[48:49], s29, v16, v[6:7]
	v_add_u32_e32 v17, s33, v17
	s_mul_hi_u32 s47, s29, s38
	v_mul_lo_u32 v18, v17, s22
	v_mul_lo_u32 v19, v16, s23
	v_mad_u64_u32 v[16:17], s[48:49], v16, s22, 0
	s_mul_i32 s46, s29, s38
	s_add_i32 s47, s33, s47
	v_add3_u32 v17, v17, v19, v18
	v_lshl_add_u64 v[16:17], v[16:17], 1, s[20:21]
	v_lshl_add_u64 v[18:19], s[46:47], 1, v[8:9]
	s_and_saveexec_b64 s[46:47], s[8:9]
	s_cbranch_execz .LBB58_16
; %bb.15:                               ;   in Loop: Header=BB58_13 Depth=1
	v_lshl_add_u64 v[26:27], v[4:5], 1, v[16:17]
	v_lshl_add_u64 v[28:29], v[10:11], 1, v[18:19]
	v_cndmask_b32_e64 v27, v27, v29, s[12:13]
	v_cndmask_b32_e64 v26, v26, v28, s[12:13]
	global_load_ushort v25, v[26:27], off
	s_waitcnt vmcnt(0)
	v_cvt_f32_f16_e32 v25, v25
	ds_write_b32 v24, v25
.LBB58_16:                              ;   in Loop: Header=BB58_13 Depth=1
	s_or_b64 exec, exec, s[46:47]
	s_and_b64 exec, exec, s[10:11]
	s_cbranch_execz .LBB58_18
; %bb.17:                               ;   in Loop: Header=BB58_13 Depth=1
	v_lshl_add_u64 v[18:19], v[12:13], 1, v[18:19]
	v_lshl_add_u64 v[16:17], v[2:3], 1, v[16:17]
	v_cndmask_b32_e64 v17, v17, v19, s[12:13]
	v_cndmask_b32_e64 v16, v16, v18, s[12:13]
	global_load_ushort v16, v[16:17], off
	s_waitcnt vmcnt(0)
	v_cvt_f32_f16_e32 v16, v16
	ds_write_b32 v24, v16 offset:1024
.LBB58_18:                              ;   in Loop: Header=BB58_13 Depth=1
	s_or_b64 exec, exec, s[44:45]
	s_and_saveexec_b64 s[44:45], s[40:41]
	s_cbranch_execz .LBB58_20
; %bb.19:                               ;   in Loop: Header=BB58_13 Depth=1
	s_mul_i32 s29, s19, s37
	s_mul_hi_u32 s33, s19, s36
	s_add_i32 s29, s33, s29
	s_mul_i32 s33, s3, s36
	s_add_i32 s47, s29, s33
	s_mul_i32 s46, s19, s36
	v_lshl_add_u64 v[16:17], s[46:47], 1, v[14:15]
	global_load_ushort v16, v[16:17], off
	s_waitcnt vmcnt(0)
	v_cvt_f32_f16_e32 v16, v16
	ds_write_b32 v23, v16
.LBB58_20:                              ;   in Loop: Header=BB58_13 Depth=1
	s_or_b64 exec, exec, s[44:45]
	s_waitcnt lgkmcnt(0)
	s_barrier
	s_and_saveexec_b64 s[44:45], s[6:7]
	s_cbranch_execz .LBB58_12
; %bb.21:                               ;   in Loop: Header=BB58_13 Depth=1
	s_and_saveexec_b64 s[46:47], s[26:27]
	s_cbranch_execz .LBB58_24
; %bb.22:                               ;   in Loop: Header=BB58_13 Depth=1
	v_mov_b32_e32 v16, v21
	v_mov_b32_e32 v17, v20
	s_mov_b64 s[48:49], s[38:39]
.LBB58_23:                              ;   Parent Loop BB58_13 Depth=1
                                        ; =>  This Inner Loop Header: Depth=2
	ds_read_b32 v18, v16
	ds_read_b32 v19, v17
	s_add_u32 s48, s48, -1
	s_addc_u32 s49, s49, -1
	v_add_u32_e32 v17, 4, v17
	v_add_u32_e32 v16, 4, v16
	s_cmp_lg_u64 s[48:49], 0
	s_waitcnt lgkmcnt(0)
	v_fma_f32 v0, v18, v19, v0
	s_cbranch_scc1 .LBB58_23
.LBB58_24:                              ;   in Loop: Header=BB58_13 Depth=1
	s_or_b64 exec, exec, s[46:47]
	s_and_saveexec_b64 s[46:47], s[42:43]
	s_cbranch_execz .LBB58_11
; %bb.25:                               ;   in Loop: Header=BB58_13 Depth=1
	v_mov_b32_e32 v16, v21
	v_mov_b32_e32 v17, v22
	s_mov_b64 s[48:49], s[38:39]
.LBB58_26:                              ;   Parent Loop BB58_13 Depth=1
                                        ; =>  This Inner Loop Header: Depth=2
	ds_read_b32 v18, v16
	ds_read_b32 v19, v17
	s_add_u32 s48, s48, -1
	s_addc_u32 s49, s49, -1
	v_add_u32_e32 v17, 4, v17
	v_add_u32_e32 v16, 4, v16
	s_cmp_lg_u64 s[48:49], 0
	s_waitcnt lgkmcnt(0)
	v_fma_f32 v1, v18, v19, v1
	s_cbranch_scc1 .LBB58_26
	s_branch .LBB58_11
.LBB58_27:
	v_mov_b32_e32 v0, v5
	v_mov_b32_e32 v1, v5
.LBB58_28:
	s_and_b64 s[4:5], s[4:5], s[6:7]
	s_and_saveexec_b64 s[6:7], s[4:5]
	s_cbranch_execz .LBB58_48
; %bb.29:
	v_mov_b32_e32 v8, s2
	v_mad_u64_u32 v[6:7], s[4:5], s38, v8, v[6:7]
	s_mul_i32 s4, s39, s2
	s_load_dwordx2 s[2:3], s[0:1], 0x78
	v_add_u32_e32 v7, s4, v7
	s_cmp_lg_u32 s16, 1
	v_cmp_neq_f32_e64 s[0:1], s28, 0
	s_cselect_b64 s[4:5], -1, 0
	s_waitcnt lgkmcnt(0)
	v_mul_lo_u32 v10, s3, v6
	v_mul_lo_u32 v11, s2, v7
	v_mad_u64_u32 v[8:9], s[6:7], s2, v6, 0
	v_add3_u32 v9, v9, v11, v10
	v_lshl_add_u64 v[8:9], v[8:9], 2, s[30:31]
	v_lshl_add_u64 v[6:7], v[6:7], 2, s[30:31]
	v_cmp_gt_i64_e32 vcc, s[14:15], v[4:5]
	s_and_saveexec_b64 s[6:7], vcc
	s_cbranch_execz .LBB58_41
; %bb.30:
	s_mov_b64 s[8:9], -1
	s_and_b64 vcc, exec, s[0:1]
	s_cbranch_vccz .LBB58_36
; %bb.31:
	s_and_b64 vcc, exec, s[4:5]
	s_cbranch_vccz .LBB58_33
; %bb.32:
	v_lshl_add_u64 v[10:11], v[4:5], 2, v[8:9]
	global_load_dword v12, v[10:11], off
	v_mul_f32_e32 v13, s18, v0
	s_mov_b64 s[8:9], 0
	s_waitcnt vmcnt(0)
	v_fmac_f32_e32 v13, s28, v12
	global_store_dword v[10:11], v13, off
.LBB58_33:
	s_andn2_b64 vcc, exec, s[8:9]
	s_cbranch_vccnz .LBB58_35
; %bb.34:
	v_mad_u64_u32 v[10:11], s[8:9], s2, v4, 0
	v_mov_b32_e32 v12, v11
	v_mad_u64_u32 v[12:13], s[8:9], s3, v4, v[12:13]
	v_mov_b32_e32 v11, v12
	v_lshl_add_u64 v[10:11], v[10:11], 2, v[6:7]
	global_load_dword v12, v[10:11], off
	v_mul_f32_e32 v13, s18, v0
	s_waitcnt vmcnt(0)
	v_fmac_f32_e32 v13, s28, v12
	global_store_dword v[10:11], v13, off
.LBB58_35:
	s_mov_b64 s[8:9], 0
.LBB58_36:
	s_andn2_b64 vcc, exec, s[8:9]
	s_cbranch_vccnz .LBB58_41
; %bb.37:
	v_mul_f32_e32 v0, s18, v0
	s_mov_b64 s[8:9], -1
	s_and_b64 vcc, exec, s[4:5]
	s_cbranch_vccz .LBB58_39
; %bb.38:
	v_lshl_add_u64 v[10:11], v[4:5], 2, v[8:9]
	global_store_dword v[10:11], v0, off
	s_mov_b64 s[8:9], 0
.LBB58_39:
	s_andn2_b64 vcc, exec, s[8:9]
	s_cbranch_vccnz .LBB58_41
; %bb.40:
	v_mad_u64_u32 v[10:11], s[8:9], s2, v4, 0
	v_mov_b32_e32 v12, v11
	v_mad_u64_u32 v[4:5], s[8:9], s3, v4, v[12:13]
	v_mov_b32_e32 v11, v4
	v_lshl_add_u64 v[4:5], v[10:11], 2, v[6:7]
	global_store_dword v[4:5], v0, off
.LBB58_41:
	s_or_b64 exec, exec, s[6:7]
	v_cmp_gt_i64_e32 vcc, s[14:15], v[2:3]
	s_and_b64 exec, exec, vcc
	s_cbranch_execz .LBB58_48
; %bb.42:
	v_cndmask_b32_e64 v0, 0, 1, s[4:5]
	s_andn2_b64 vcc, exec, s[0:1]
	v_cmp_ne_u32_e64 s[0:1], 1, v0
	s_cbranch_vccnz .LBB58_49
; %bb.43:
	s_and_b64 vcc, exec, s[0:1]
	s_mov_b64 s[4:5], -1
	s_cbranch_vccnz .LBB58_45
; %bb.44:
	v_lshl_add_u64 v[4:5], v[2:3], 2, v[8:9]
	global_load_dword v0, v[4:5], off
	v_mul_f32_e32 v10, s18, v1
	s_mov_b64 s[4:5], 0
	s_waitcnt vmcnt(0)
	v_fmac_f32_e32 v10, s28, v0
	global_store_dword v[4:5], v10, off
.LBB58_45:
	s_andn2_b64 vcc, exec, s[4:5]
	s_cbranch_vccnz .LBB58_47
; %bb.46:
	v_mad_u64_u32 v[4:5], s[4:5], s2, v2, 0
	v_mov_b32_e32 v0, v5
	v_mad_u64_u32 v[10:11], s[4:5], s3, v2, v[0:1]
	v_mov_b32_e32 v5, v10
	v_lshl_add_u64 v[4:5], v[4:5], 2, v[6:7]
	global_load_dword v0, v[4:5], off
	v_mul_f32_e32 v10, s18, v1
	s_waitcnt vmcnt(0)
	v_fmac_f32_e32 v10, s28, v0
	global_store_dword v[4:5], v10, off
.LBB58_47:
	s_cbranch_execz .LBB58_50
.LBB58_48:
	s_endpgm
.LBB58_49:
.LBB58_50:
	v_mul_f32_e32 v0, s18, v1
	s_and_b64 vcc, exec, s[0:1]
	s_mov_b64 s[0:1], -1
	s_cbranch_vccnz .LBB58_52
; %bb.51:
	v_lshl_add_u64 v[4:5], v[2:3], 2, v[8:9]
	s_mov_b64 s[0:1], 0
	global_store_dword v[4:5], v0, off
.LBB58_52:
	s_andn2_b64 vcc, exec, s[0:1]
	s_cbranch_vccnz .LBB58_48
; %bb.53:
	v_mad_u64_u32 v[4:5], s[0:1], s2, v2, 0
	v_mov_b32_e32 v8, v5
	v_mad_u64_u32 v[2:3], s[0:1], s3, v2, v[8:9]
	v_mov_b32_e32 v5, v2
	v_lshl_add_u64 v[2:3], v[4:5], 2, v[6:7]
	global_store_dword v[2:3], v0, off
	s_endpgm
	.section	.rodata,"a",@progbits
	.p2align	6, 0x0
	.amdhsa_kernel _ZN9rocsparseL31bsrmm_large_blockdim_kernel_extILj16ELj16ELj2EllDF16_DF16_ffEEvb20rocsparse_direction_T3_S2_llNS_24const_host_device_scalarIT7_EEPKT2_PKS2_PKT4_S2_PKT5_llS5_PT6_ll16rocsparse_order_21rocsparse_index_base_b
		.amdhsa_group_segment_fixed_size 3072
		.amdhsa_private_segment_fixed_size 0
		.amdhsa_kernarg_size 148
		.amdhsa_user_sgpr_count 2
		.amdhsa_user_sgpr_dispatch_ptr 0
		.amdhsa_user_sgpr_queue_ptr 0
		.amdhsa_user_sgpr_kernarg_segment_ptr 1
		.amdhsa_user_sgpr_dispatch_id 0
		.amdhsa_user_sgpr_kernarg_preload_length 0
		.amdhsa_user_sgpr_kernarg_preload_offset 0
		.amdhsa_user_sgpr_private_segment_size 0
		.amdhsa_uses_dynamic_stack 0
		.amdhsa_enable_private_segment 0
		.amdhsa_system_sgpr_workgroup_id_x 1
		.amdhsa_system_sgpr_workgroup_id_y 1
		.amdhsa_system_sgpr_workgroup_id_z 0
		.amdhsa_system_sgpr_workgroup_info 0
		.amdhsa_system_vgpr_workitem_id 1
		.amdhsa_next_free_vgpr 30
		.amdhsa_next_free_sgpr 50
		.amdhsa_accum_offset 32
		.amdhsa_reserve_vcc 1
		.amdhsa_float_round_mode_32 0
		.amdhsa_float_round_mode_16_64 0
		.amdhsa_float_denorm_mode_32 3
		.amdhsa_float_denorm_mode_16_64 3
		.amdhsa_dx10_clamp 1
		.amdhsa_ieee_mode 1
		.amdhsa_fp16_overflow 0
		.amdhsa_tg_split 0
		.amdhsa_exception_fp_ieee_invalid_op 0
		.amdhsa_exception_fp_denorm_src 0
		.amdhsa_exception_fp_ieee_div_zero 0
		.amdhsa_exception_fp_ieee_overflow 0
		.amdhsa_exception_fp_ieee_underflow 0
		.amdhsa_exception_fp_ieee_inexact 0
		.amdhsa_exception_int_div_zero 0
	.end_amdhsa_kernel
	.section	.text._ZN9rocsparseL31bsrmm_large_blockdim_kernel_extILj16ELj16ELj2EllDF16_DF16_ffEEvb20rocsparse_direction_T3_S2_llNS_24const_host_device_scalarIT7_EEPKT2_PKS2_PKT4_S2_PKT5_llS5_PT6_ll16rocsparse_order_21rocsparse_index_base_b,"axG",@progbits,_ZN9rocsparseL31bsrmm_large_blockdim_kernel_extILj16ELj16ELj2EllDF16_DF16_ffEEvb20rocsparse_direction_T3_S2_llNS_24const_host_device_scalarIT7_EEPKT2_PKS2_PKT4_S2_PKT5_llS5_PT6_ll16rocsparse_order_21rocsparse_index_base_b,comdat
.Lfunc_end58:
	.size	_ZN9rocsparseL31bsrmm_large_blockdim_kernel_extILj16ELj16ELj2EllDF16_DF16_ffEEvb20rocsparse_direction_T3_S2_llNS_24const_host_device_scalarIT7_EEPKT2_PKS2_PKT4_S2_PKT5_llS5_PT6_ll16rocsparse_order_21rocsparse_index_base_b, .Lfunc_end58-_ZN9rocsparseL31bsrmm_large_blockdim_kernel_extILj16ELj16ELj2EllDF16_DF16_ffEEvb20rocsparse_direction_T3_S2_llNS_24const_host_device_scalarIT7_EEPKT2_PKS2_PKT4_S2_PKT5_llS5_PT6_ll16rocsparse_order_21rocsparse_index_base_b
                                        ; -- End function
	.set _ZN9rocsparseL31bsrmm_large_blockdim_kernel_extILj16ELj16ELj2EllDF16_DF16_ffEEvb20rocsparse_direction_T3_S2_llNS_24const_host_device_scalarIT7_EEPKT2_PKS2_PKT4_S2_PKT5_llS5_PT6_ll16rocsparse_order_21rocsparse_index_base_b.num_vgpr, 30
	.set _ZN9rocsparseL31bsrmm_large_blockdim_kernel_extILj16ELj16ELj2EllDF16_DF16_ffEEvb20rocsparse_direction_T3_S2_llNS_24const_host_device_scalarIT7_EEPKT2_PKS2_PKT4_S2_PKT5_llS5_PT6_ll16rocsparse_order_21rocsparse_index_base_b.num_agpr, 0
	.set _ZN9rocsparseL31bsrmm_large_blockdim_kernel_extILj16ELj16ELj2EllDF16_DF16_ffEEvb20rocsparse_direction_T3_S2_llNS_24const_host_device_scalarIT7_EEPKT2_PKS2_PKT4_S2_PKT5_llS5_PT6_ll16rocsparse_order_21rocsparse_index_base_b.numbered_sgpr, 50
	.set _ZN9rocsparseL31bsrmm_large_blockdim_kernel_extILj16ELj16ELj2EllDF16_DF16_ffEEvb20rocsparse_direction_T3_S2_llNS_24const_host_device_scalarIT7_EEPKT2_PKS2_PKT4_S2_PKT5_llS5_PT6_ll16rocsparse_order_21rocsparse_index_base_b.num_named_barrier, 0
	.set _ZN9rocsparseL31bsrmm_large_blockdim_kernel_extILj16ELj16ELj2EllDF16_DF16_ffEEvb20rocsparse_direction_T3_S2_llNS_24const_host_device_scalarIT7_EEPKT2_PKS2_PKT4_S2_PKT5_llS5_PT6_ll16rocsparse_order_21rocsparse_index_base_b.private_seg_size, 0
	.set _ZN9rocsparseL31bsrmm_large_blockdim_kernel_extILj16ELj16ELj2EllDF16_DF16_ffEEvb20rocsparse_direction_T3_S2_llNS_24const_host_device_scalarIT7_EEPKT2_PKS2_PKT4_S2_PKT5_llS5_PT6_ll16rocsparse_order_21rocsparse_index_base_b.uses_vcc, 1
	.set _ZN9rocsparseL31bsrmm_large_blockdim_kernel_extILj16ELj16ELj2EllDF16_DF16_ffEEvb20rocsparse_direction_T3_S2_llNS_24const_host_device_scalarIT7_EEPKT2_PKS2_PKT4_S2_PKT5_llS5_PT6_ll16rocsparse_order_21rocsparse_index_base_b.uses_flat_scratch, 0
	.set _ZN9rocsparseL31bsrmm_large_blockdim_kernel_extILj16ELj16ELj2EllDF16_DF16_ffEEvb20rocsparse_direction_T3_S2_llNS_24const_host_device_scalarIT7_EEPKT2_PKS2_PKT4_S2_PKT5_llS5_PT6_ll16rocsparse_order_21rocsparse_index_base_b.has_dyn_sized_stack, 0
	.set _ZN9rocsparseL31bsrmm_large_blockdim_kernel_extILj16ELj16ELj2EllDF16_DF16_ffEEvb20rocsparse_direction_T3_S2_llNS_24const_host_device_scalarIT7_EEPKT2_PKS2_PKT4_S2_PKT5_llS5_PT6_ll16rocsparse_order_21rocsparse_index_base_b.has_recursion, 0
	.set _ZN9rocsparseL31bsrmm_large_blockdim_kernel_extILj16ELj16ELj2EllDF16_DF16_ffEEvb20rocsparse_direction_T3_S2_llNS_24const_host_device_scalarIT7_EEPKT2_PKS2_PKT4_S2_PKT5_llS5_PT6_ll16rocsparse_order_21rocsparse_index_base_b.has_indirect_call, 0
	.section	.AMDGPU.csdata,"",@progbits
; Kernel info:
; codeLenInByte = 1792
; TotalNumSgprs: 56
; NumVgprs: 30
; NumAgprs: 0
; TotalNumVgprs: 30
; ScratchSize: 0
; MemoryBound: 0
; FloatMode: 240
; IeeeMode: 1
; LDSByteSize: 3072 bytes/workgroup (compile time only)
; SGPRBlocks: 6
; VGPRBlocks: 3
; NumSGPRsForWavesPerEU: 56
; NumVGPRsForWavesPerEU: 30
; AccumOffset: 32
; Occupancy: 8
; WaveLimiterHint : 1
; COMPUTE_PGM_RSRC2:SCRATCH_EN: 0
; COMPUTE_PGM_RSRC2:USER_SGPR: 2
; COMPUTE_PGM_RSRC2:TRAP_HANDLER: 0
; COMPUTE_PGM_RSRC2:TGID_X_EN: 1
; COMPUTE_PGM_RSRC2:TGID_Y_EN: 1
; COMPUTE_PGM_RSRC2:TGID_Z_EN: 0
; COMPUTE_PGM_RSRC2:TIDIG_COMP_CNT: 1
; COMPUTE_PGM_RSRC3_GFX90A:ACCUM_OFFSET: 7
; COMPUTE_PGM_RSRC3_GFX90A:TG_SPLIT: 0
	.section	.text._ZN9rocsparseL31bsrmm_large_blockdim_kernel_extILj32ELj32ELj2EllDF16_DF16_ffEEvb20rocsparse_direction_T3_S2_llNS_24const_host_device_scalarIT7_EEPKT2_PKS2_PKT4_S2_PKT5_llS5_PT6_ll16rocsparse_order_21rocsparse_index_base_b,"axG",@progbits,_ZN9rocsparseL31bsrmm_large_blockdim_kernel_extILj32ELj32ELj2EllDF16_DF16_ffEEvb20rocsparse_direction_T3_S2_llNS_24const_host_device_scalarIT7_EEPKT2_PKS2_PKT4_S2_PKT5_llS5_PT6_ll16rocsparse_order_21rocsparse_index_base_b,comdat
	.globl	_ZN9rocsparseL31bsrmm_large_blockdim_kernel_extILj32ELj32ELj2EllDF16_DF16_ffEEvb20rocsparse_direction_T3_S2_llNS_24const_host_device_scalarIT7_EEPKT2_PKS2_PKT4_S2_PKT5_llS5_PT6_ll16rocsparse_order_21rocsparse_index_base_b ; -- Begin function _ZN9rocsparseL31bsrmm_large_blockdim_kernel_extILj32ELj32ELj2EllDF16_DF16_ffEEvb20rocsparse_direction_T3_S2_llNS_24const_host_device_scalarIT7_EEPKT2_PKS2_PKT4_S2_PKT5_llS5_PT6_ll16rocsparse_order_21rocsparse_index_base_b
	.p2align	8
	.type	_ZN9rocsparseL31bsrmm_large_blockdim_kernel_extILj32ELj32ELj2EllDF16_DF16_ffEEvb20rocsparse_direction_T3_S2_llNS_24const_host_device_scalarIT7_EEPKT2_PKS2_PKT4_S2_PKT5_llS5_PT6_ll16rocsparse_order_21rocsparse_index_base_b,@function
_ZN9rocsparseL31bsrmm_large_blockdim_kernel_extILj32ELj32ELj2EllDF16_DF16_ffEEvb20rocsparse_direction_T3_S2_llNS_24const_host_device_scalarIT7_EEPKT2_PKS2_PKT4_S2_PKT5_llS5_PT6_ll16rocsparse_order_21rocsparse_index_base_b: ; @_ZN9rocsparseL31bsrmm_large_blockdim_kernel_extILj32ELj32ELj2EllDF16_DF16_ffEEvb20rocsparse_direction_T3_S2_llNS_24const_host_device_scalarIT7_EEPKT2_PKS2_PKT4_S2_PKT5_llS5_PT6_ll16rocsparse_order_21rocsparse_index_base_b
; %bb.0:
	s_load_dwordx4 s[16:19], s[0:1], 0x88
	s_mov_b32 s6, s3
	s_waitcnt lgkmcnt(0)
	s_bitcmp1_b32 s18, 0
	s_load_dwordx2 s[18:19], s[0:1], 0x28
	s_load_dwordx2 s[28:29], s[0:1], 0x68
	s_cselect_b64 s[8:9], -1, 0
	s_xor_b64 s[4:5], s[8:9], -1
	s_and_b64 vcc, exec, s[8:9]
	s_cbranch_vccnz .LBB59_2
; %bb.1:
	s_waitcnt lgkmcnt(0)
	s_load_dword s18, s[18:19], 0x0
.LBB59_2:
	s_andn2_b64 vcc, exec, s[4:5]
	s_cbranch_vccnz .LBB59_4
; %bb.3:
	s_waitcnt lgkmcnt(0)
	s_load_dword s28, s[28:29], 0x0
.LBB59_4:
	s_waitcnt lgkmcnt(0)
	v_cmp_eq_f32_e64 s[4:5], s18, 0
	v_cmp_eq_f32_e64 s[8:9], s28, 1.0
	s_and_b64 s[4:5], s[4:5], s[8:9]
	s_and_b64 vcc, exec, s[4:5]
	s_cbranch_vccnz .LBB59_48
; %bb.5:
	s_load_dwordx4 s[12:15], s[0:1], 0x8
	s_load_dwordx2 s[8:9], s[0:1], 0x30
	s_ashr_i32 s3, s2, 31
	v_mov_b64_e32 v[2:3], s[2:3]
	s_mov_b64 s[42:43], 0
	s_waitcnt lgkmcnt(0)
	v_cmp_le_i64_e32 vcc, s[12:13], v[2:3]
	v_cmp_gt_i64_e64 s[4:5], s[12:13], v[2:3]
	s_mov_b64 s[34:35], 0
	s_cbranch_vccnz .LBB59_7
; %bb.6:
	s_lshl_b64 s[10:11], s[2:3], 3
	s_add_u32 s10, s8, s10
	s_addc_u32 s11, s9, s11
	s_load_dwordx2 s[10:11], s[10:11], 0x0
	s_waitcnt lgkmcnt(0)
	s_sub_u32 s34, s10, s17
	s_subb_u32 s35, s11, 0
.LBB59_7:
	s_andn2_b64 vcc, exec, s[4:5]
	s_cbranch_vccnz .LBB59_9
; %bb.8:
	s_lshl_b64 s[10:11], s[2:3], 3
	s_add_u32 s8, s8, s10
	s_addc_u32 s9, s9, s11
	s_load_dwordx2 s[8:9], s[8:9], 0x8
	s_waitcnt lgkmcnt(0)
	s_sub_u32 s42, s8, s17
	s_subb_u32 s43, s9, 0
.LBB59_9:
	s_load_dwordx2 s[30:31], s[0:1], 0x70
	s_load_dwordx2 s[36:37], s[0:1], 0x48
	v_bfe_u32 v10, v0, 10, 10
	v_lshl_add_u32 v4, s6, 6, v10
	v_mov_b32_e32 v5, 0
	v_and_b32_e32 v6, 0x3ff, v0
	v_mov_b64_e32 v[0:1], s[42:43]
	v_add_u32_e32 v2, 32, v4
	v_mov_b32_e32 v3, v5
	v_mov_b32_e32 v7, v5
	v_cmp_ge_i64_e32 vcc, s[34:35], v[0:1]
	s_waitcnt lgkmcnt(0)
	v_cmp_gt_i64_e64 s[6:7], s[36:37], v[6:7]
	v_cmp_gt_i64_e64 s[8:9], s[14:15], v[4:5]
	;; [unrolled: 1-line block ×3, first 2 shown]
	s_cbranch_vccnz .LBB59_27
; %bb.10:
	s_load_dwordx4 s[24:27], s[0:1], 0x38
	s_load_dwordx2 s[40:41], s[0:1], 0x0
	s_mul_i32 s3, s36, s37
	s_mul_hi_u32 s12, s36, s36
	v_mov_b32_e32 v11, v5
	s_add_i32 s12, s12, s3
	v_cmp_gt_i64_e32 vcc, s[36:37], v[10:11]
	s_add_i32 s3, s12, s3
	s_and_b64 s[38:39], s[6:7], vcc
	s_waitcnt lgkmcnt(0)
	s_bitcmp1_b32 s40, 0
	s_load_dwordx4 s[20:23], s[0:1], 0x50
	s_cselect_b64 s[12:13], -1, 0
	s_cmp_eq_u32 s41, 0
	v_mad_u64_u32 v[12:13], s[40:41], s36, v10, 0
	v_mov_b32_e32 v14, v13
	v_mad_u64_u32 v[14:15], s[40:41], s37, v10, v[14:15]
	v_mov_b32_e32 v0, 0x2000
	v_mov_b32_e32 v13, v14
	v_lshl_add_u32 v18, v10, 2, v0
	v_lshlrev_b32_e32 v0, 1, v6
	v_mov_b32_e32 v1, v5
	v_lshl_add_u64 v[12:13], v[12:13], 1, s[26:27]
	s_waitcnt lgkmcnt(0)
	v_lshl_add_u64 v[8:9], s[20:21], 0, v[0:1]
	v_lshl_add_u64 v[0:1], v[12:13], 0, v[0:1]
	v_mad_u64_u32 v[12:13], s[40:41], s36, v6, 0
	v_mov_b32_e32 v14, v13
	v_mad_u64_u32 v[14:15], s[40:41], s37, v6, v[14:15]
	v_mov_b32_e32 v13, v14
	v_lshlrev_b32_e32 v22, 7, v10
	v_lshl_add_u64 v[12:13], v[12:13], 1, s[26:27]
	v_lshlrev_b32_e32 v10, 1, v10
	v_lshl_add_u64 v[14:15], v[12:13], 0, v[10:11]
	v_mad_u64_u32 v[10:11], s[26:27], s22, v4, 0
	v_mov_b32_e32 v12, v11
	v_mad_u64_u32 v[12:13], s[26:27], s23, v4, v[12:13]
	v_mov_b32_e32 v11, v12
	;; [unrolled: 2-line block ×3, first 2 shown]
	v_lshlrev_b32_e32 v19, 2, v6
	s_cselect_b64 vcc, -1, 0
	v_lshlrev_b32_e32 v20, 7, v6
	v_cmp_gt_i64_e64 s[40:41], s[36:37], 0
	v_mad_u64_u32 v[16:17], s[26:27], s23, v2, v[16:17]
	s_mul_i32 s19, s36, s36
	v_mov_b32_e32 v13, v16
	s_and_b64 s[26:27], s[8:9], s[40:41]
	s_and_b64 s[40:41], s[10:11], s[40:41]
	v_cndmask_b32_e32 v15, v1, v15, vcc
	v_cndmask_b32_e32 v14, v0, v14, vcc
	v_add_u32_e32 v23, 0x2000, v20
	v_add_u32_e32 v24, 0x1000, v22
	v_mov_b32_e32 v0, v5
	v_mov_b32_e32 v1, v5
	v_add_u32_e32 v25, v19, v22
	v_add_u32_e32 v26, v18, v20
	v_mov_b64_e32 v[16:17], s[42:43]
	s_branch .LBB59_13
.LBB59_11:                              ;   in Loop: Header=BB59_13 Depth=1
	s_or_b64 exec, exec, s[44:45]
.LBB59_12:                              ;   in Loop: Header=BB59_13 Depth=1
	s_or_b64 exec, exec, s[42:43]
	s_add_u32 s34, s34, 1
	s_addc_u32 s35, s35, 0
	v_cmp_ge_i64_e32 vcc, s[34:35], v[16:17]
	s_barrier
	s_cbranch_vccnz .LBB59_28
.LBB59_13:                              ; =>This Loop Header: Depth=1
                                        ;     Child Loop BB59_23 Depth 2
                                        ;     Child Loop BB59_26 Depth 2
	s_and_saveexec_b64 s[42:43], s[6:7]
	s_cbranch_execz .LBB59_18
; %bb.14:                               ;   in Loop: Header=BB59_13 Depth=1
	s_lshl_b64 s[44:45], s[34:35], 3
	s_add_u32 s44, s24, s44
	s_addc_u32 s45, s25, s45
	s_load_dwordx2 s[44:45], s[44:45], 0x0
	v_mov_b32_e32 v18, s36
	s_waitcnt lgkmcnt(0)
	s_sub_u32 s29, s44, s17
	s_subb_u32 s33, s45, 0
	s_mul_i32 s46, s29, s37
	s_mul_i32 s33, s33, s36
	s_add_i32 s33, s46, s33
	v_mad_u64_u32 v[18:19], s[46:47], s29, v18, v[6:7]
	v_add_u32_e32 v19, s33, v19
	s_mul_hi_u32 s45, s29, s36
	v_mul_lo_u32 v20, v19, s22
	v_mul_lo_u32 v21, v18, s23
	v_mad_u64_u32 v[18:19], s[46:47], v18, s22, 0
	s_mul_i32 s44, s29, s36
	s_add_i32 s45, s33, s45
	v_add3_u32 v19, v19, v21, v20
	v_lshl_add_u64 v[18:19], v[18:19], 1, s[20:21]
	v_lshl_add_u64 v[20:21], s[44:45], 1, v[8:9]
	s_and_saveexec_b64 s[44:45], s[8:9]
	s_cbranch_execz .LBB59_16
; %bb.15:                               ;   in Loop: Header=BB59_13 Depth=1
	v_lshl_add_u64 v[28:29], v[4:5], 1, v[18:19]
	v_lshl_add_u64 v[30:31], v[10:11], 1, v[20:21]
	v_cndmask_b32_e64 v29, v29, v31, s[12:13]
	v_cndmask_b32_e64 v28, v28, v30, s[12:13]
	global_load_ushort v27, v[28:29], off
	s_waitcnt vmcnt(0)
	v_cvt_f32_f16_e32 v27, v27
	ds_write_b32 v25, v27
.LBB59_16:                              ;   in Loop: Header=BB59_13 Depth=1
	s_or_b64 exec, exec, s[44:45]
	s_and_b64 exec, exec, s[10:11]
	s_cbranch_execz .LBB59_18
; %bb.17:                               ;   in Loop: Header=BB59_13 Depth=1
	v_lshl_add_u64 v[20:21], v[12:13], 1, v[20:21]
	v_lshl_add_u64 v[18:19], v[2:3], 1, v[18:19]
	v_cndmask_b32_e64 v19, v19, v21, s[12:13]
	v_cndmask_b32_e64 v18, v18, v20, s[12:13]
	global_load_ushort v18, v[18:19], off
	s_waitcnt vmcnt(0)
	v_cvt_f32_f16_e32 v18, v18
	ds_write_b32 v25, v18 offset:4096
.LBB59_18:                              ;   in Loop: Header=BB59_13 Depth=1
	s_or_b64 exec, exec, s[42:43]
	s_and_saveexec_b64 s[42:43], s[38:39]
	s_cbranch_execz .LBB59_20
; %bb.19:                               ;   in Loop: Header=BB59_13 Depth=1
	s_mul_i32 s29, s19, s35
	s_mul_hi_u32 s33, s19, s34
	s_add_i32 s29, s33, s29
	s_mul_i32 s33, s3, s34
	s_add_i32 s45, s29, s33
	s_mul_i32 s44, s19, s34
	v_lshl_add_u64 v[18:19], s[44:45], 1, v[14:15]
	global_load_ushort v18, v[18:19], off
	s_waitcnt vmcnt(0)
	v_cvt_f32_f16_e32 v18, v18
	ds_write_b32 v26, v18
.LBB59_20:                              ;   in Loop: Header=BB59_13 Depth=1
	s_or_b64 exec, exec, s[42:43]
	s_waitcnt lgkmcnt(0)
	s_barrier
	s_and_saveexec_b64 s[42:43], s[6:7]
	s_cbranch_execz .LBB59_12
; %bb.21:                               ;   in Loop: Header=BB59_13 Depth=1
	s_and_saveexec_b64 s[44:45], s[26:27]
	s_cbranch_execz .LBB59_24
; %bb.22:                               ;   in Loop: Header=BB59_13 Depth=1
	v_mov_b32_e32 v18, v23
	v_mov_b32_e32 v19, v22
	s_mov_b64 s[46:47], s[36:37]
.LBB59_23:                              ;   Parent Loop BB59_13 Depth=1
                                        ; =>  This Inner Loop Header: Depth=2
	ds_read_b32 v20, v18
	ds_read_b32 v21, v19
	s_add_u32 s46, s46, -1
	s_addc_u32 s47, s47, -1
	v_add_u32_e32 v19, 4, v19
	v_add_u32_e32 v18, 4, v18
	s_cmp_lg_u64 s[46:47], 0
	s_waitcnt lgkmcnt(0)
	v_fma_f32 v0, v20, v21, v0
	s_cbranch_scc1 .LBB59_23
.LBB59_24:                              ;   in Loop: Header=BB59_13 Depth=1
	s_or_b64 exec, exec, s[44:45]
	s_and_saveexec_b64 s[44:45], s[40:41]
	s_cbranch_execz .LBB59_11
; %bb.25:                               ;   in Loop: Header=BB59_13 Depth=1
	v_mov_b32_e32 v18, v23
	v_mov_b32_e32 v19, v24
	s_mov_b64 s[46:47], s[36:37]
.LBB59_26:                              ;   Parent Loop BB59_13 Depth=1
                                        ; =>  This Inner Loop Header: Depth=2
	ds_read_b32 v20, v18
	ds_read_b32 v21, v19
	s_add_u32 s46, s46, -1
	s_addc_u32 s47, s47, -1
	v_add_u32_e32 v19, 4, v19
	v_add_u32_e32 v18, 4, v18
	s_cmp_lg_u64 s[46:47], 0
	s_waitcnt lgkmcnt(0)
	v_fma_f32 v1, v20, v21, v1
	s_cbranch_scc1 .LBB59_26
	s_branch .LBB59_11
.LBB59_27:
	v_mov_b32_e32 v0, v5
	v_mov_b32_e32 v1, v5
.LBB59_28:
	s_and_b64 s[4:5], s[4:5], s[6:7]
	s_and_saveexec_b64 s[6:7], s[4:5]
	s_cbranch_execz .LBB59_48
; %bb.29:
	v_mov_b32_e32 v8, s2
	v_mad_u64_u32 v[6:7], s[4:5], s36, v8, v[6:7]
	s_mul_i32 s4, s37, s2
	s_load_dwordx2 s[2:3], s[0:1], 0x78
	v_add_u32_e32 v7, s4, v7
	s_cmp_lg_u32 s16, 1
	v_cmp_neq_f32_e64 s[0:1], s28, 0
	s_cselect_b64 s[4:5], -1, 0
	s_waitcnt lgkmcnt(0)
	v_mul_lo_u32 v10, s3, v6
	v_mul_lo_u32 v11, s2, v7
	v_mad_u64_u32 v[8:9], s[6:7], s2, v6, 0
	v_add3_u32 v9, v9, v11, v10
	v_lshl_add_u64 v[8:9], v[8:9], 2, s[30:31]
	v_lshl_add_u64 v[6:7], v[6:7], 2, s[30:31]
	v_cmp_gt_i64_e32 vcc, s[14:15], v[4:5]
	s_and_saveexec_b64 s[6:7], vcc
	s_cbranch_execz .LBB59_41
; %bb.30:
	s_mov_b64 s[8:9], -1
	s_and_b64 vcc, exec, s[0:1]
	s_cbranch_vccz .LBB59_36
; %bb.31:
	s_and_b64 vcc, exec, s[4:5]
	s_cbranch_vccz .LBB59_33
; %bb.32:
	v_lshl_add_u64 v[10:11], v[4:5], 2, v[8:9]
	global_load_dword v12, v[10:11], off
	v_mul_f32_e32 v13, s18, v0
	s_mov_b64 s[8:9], 0
	s_waitcnt vmcnt(0)
	v_fmac_f32_e32 v13, s28, v12
	global_store_dword v[10:11], v13, off
.LBB59_33:
	s_andn2_b64 vcc, exec, s[8:9]
	s_cbranch_vccnz .LBB59_35
; %bb.34:
	v_mad_u64_u32 v[10:11], s[8:9], s2, v4, 0
	v_mov_b32_e32 v12, v11
	v_mad_u64_u32 v[12:13], s[8:9], s3, v4, v[12:13]
	v_mov_b32_e32 v11, v12
	v_lshl_add_u64 v[10:11], v[10:11], 2, v[6:7]
	global_load_dword v12, v[10:11], off
	v_mul_f32_e32 v13, s18, v0
	s_waitcnt vmcnt(0)
	v_fmac_f32_e32 v13, s28, v12
	global_store_dword v[10:11], v13, off
.LBB59_35:
	s_mov_b64 s[8:9], 0
.LBB59_36:
	s_andn2_b64 vcc, exec, s[8:9]
	s_cbranch_vccnz .LBB59_41
; %bb.37:
	v_mul_f32_e32 v0, s18, v0
	s_mov_b64 s[8:9], -1
	s_and_b64 vcc, exec, s[4:5]
	s_cbranch_vccz .LBB59_39
; %bb.38:
	v_lshl_add_u64 v[10:11], v[4:5], 2, v[8:9]
	global_store_dword v[10:11], v0, off
	s_mov_b64 s[8:9], 0
.LBB59_39:
	s_andn2_b64 vcc, exec, s[8:9]
	s_cbranch_vccnz .LBB59_41
; %bb.40:
	v_mad_u64_u32 v[10:11], s[8:9], s2, v4, 0
	v_mov_b32_e32 v12, v11
	v_mad_u64_u32 v[4:5], s[8:9], s3, v4, v[12:13]
	v_mov_b32_e32 v11, v4
	v_lshl_add_u64 v[4:5], v[10:11], 2, v[6:7]
	global_store_dword v[4:5], v0, off
.LBB59_41:
	s_or_b64 exec, exec, s[6:7]
	v_cmp_gt_i64_e32 vcc, s[14:15], v[2:3]
	s_and_b64 exec, exec, vcc
	s_cbranch_execz .LBB59_48
; %bb.42:
	v_cndmask_b32_e64 v0, 0, 1, s[4:5]
	s_andn2_b64 vcc, exec, s[0:1]
	v_cmp_ne_u32_e64 s[0:1], 1, v0
	s_cbranch_vccnz .LBB59_49
; %bb.43:
	s_and_b64 vcc, exec, s[0:1]
	s_mov_b64 s[4:5], -1
	s_cbranch_vccnz .LBB59_45
; %bb.44:
	v_lshl_add_u64 v[4:5], v[2:3], 2, v[8:9]
	global_load_dword v0, v[4:5], off
	v_mul_f32_e32 v10, s18, v1
	s_mov_b64 s[4:5], 0
	s_waitcnt vmcnt(0)
	v_fmac_f32_e32 v10, s28, v0
	global_store_dword v[4:5], v10, off
.LBB59_45:
	s_andn2_b64 vcc, exec, s[4:5]
	s_cbranch_vccnz .LBB59_47
; %bb.46:
	v_mad_u64_u32 v[4:5], s[4:5], s2, v2, 0
	v_mov_b32_e32 v0, v5
	v_mad_u64_u32 v[10:11], s[4:5], s3, v2, v[0:1]
	v_mov_b32_e32 v5, v10
	v_lshl_add_u64 v[4:5], v[4:5], 2, v[6:7]
	global_load_dword v0, v[4:5], off
	v_mul_f32_e32 v10, s18, v1
	s_waitcnt vmcnt(0)
	v_fmac_f32_e32 v10, s28, v0
	global_store_dword v[4:5], v10, off
.LBB59_47:
	s_cbranch_execz .LBB59_50
.LBB59_48:
	s_endpgm
.LBB59_49:
.LBB59_50:
	v_mul_f32_e32 v0, s18, v1
	s_and_b64 vcc, exec, s[0:1]
	s_mov_b64 s[0:1], -1
	s_cbranch_vccnz .LBB59_52
; %bb.51:
	v_lshl_add_u64 v[4:5], v[2:3], 2, v[8:9]
	s_mov_b64 s[0:1], 0
	global_store_dword v[4:5], v0, off
.LBB59_52:
	s_andn2_b64 vcc, exec, s[0:1]
	s_cbranch_vccnz .LBB59_48
; %bb.53:
	v_mad_u64_u32 v[4:5], s[0:1], s2, v2, 0
	v_mov_b32_e32 v8, v5
	v_mad_u64_u32 v[2:3], s[0:1], s3, v2, v[8:9]
	v_mov_b32_e32 v5, v2
	v_lshl_add_u64 v[2:3], v[4:5], 2, v[6:7]
	global_store_dword v[2:3], v0, off
	s_endpgm
	.section	.rodata,"a",@progbits
	.p2align	6, 0x0
	.amdhsa_kernel _ZN9rocsparseL31bsrmm_large_blockdim_kernel_extILj32ELj32ELj2EllDF16_DF16_ffEEvb20rocsparse_direction_T3_S2_llNS_24const_host_device_scalarIT7_EEPKT2_PKS2_PKT4_S2_PKT5_llS5_PT6_ll16rocsparse_order_21rocsparse_index_base_b
		.amdhsa_group_segment_fixed_size 12288
		.amdhsa_private_segment_fixed_size 0
		.amdhsa_kernarg_size 148
		.amdhsa_user_sgpr_count 2
		.amdhsa_user_sgpr_dispatch_ptr 0
		.amdhsa_user_sgpr_queue_ptr 0
		.amdhsa_user_sgpr_kernarg_segment_ptr 1
		.amdhsa_user_sgpr_dispatch_id 0
		.amdhsa_user_sgpr_kernarg_preload_length 0
		.amdhsa_user_sgpr_kernarg_preload_offset 0
		.amdhsa_user_sgpr_private_segment_size 0
		.amdhsa_uses_dynamic_stack 0
		.amdhsa_enable_private_segment 0
		.amdhsa_system_sgpr_workgroup_id_x 1
		.amdhsa_system_sgpr_workgroup_id_y 1
		.amdhsa_system_sgpr_workgroup_id_z 0
		.amdhsa_system_sgpr_workgroup_info 0
		.amdhsa_system_vgpr_workitem_id 1
		.amdhsa_next_free_vgpr 32
		.amdhsa_next_free_sgpr 48
		.amdhsa_accum_offset 32
		.amdhsa_reserve_vcc 1
		.amdhsa_float_round_mode_32 0
		.amdhsa_float_round_mode_16_64 0
		.amdhsa_float_denorm_mode_32 3
		.amdhsa_float_denorm_mode_16_64 3
		.amdhsa_dx10_clamp 1
		.amdhsa_ieee_mode 1
		.amdhsa_fp16_overflow 0
		.amdhsa_tg_split 0
		.amdhsa_exception_fp_ieee_invalid_op 0
		.amdhsa_exception_fp_denorm_src 0
		.amdhsa_exception_fp_ieee_div_zero 0
		.amdhsa_exception_fp_ieee_overflow 0
		.amdhsa_exception_fp_ieee_underflow 0
		.amdhsa_exception_fp_ieee_inexact 0
		.amdhsa_exception_int_div_zero 0
	.end_amdhsa_kernel
	.section	.text._ZN9rocsparseL31bsrmm_large_blockdim_kernel_extILj32ELj32ELj2EllDF16_DF16_ffEEvb20rocsparse_direction_T3_S2_llNS_24const_host_device_scalarIT7_EEPKT2_PKS2_PKT4_S2_PKT5_llS5_PT6_ll16rocsparse_order_21rocsparse_index_base_b,"axG",@progbits,_ZN9rocsparseL31bsrmm_large_blockdim_kernel_extILj32ELj32ELj2EllDF16_DF16_ffEEvb20rocsparse_direction_T3_S2_llNS_24const_host_device_scalarIT7_EEPKT2_PKS2_PKT4_S2_PKT5_llS5_PT6_ll16rocsparse_order_21rocsparse_index_base_b,comdat
.Lfunc_end59:
	.size	_ZN9rocsparseL31bsrmm_large_blockdim_kernel_extILj32ELj32ELj2EllDF16_DF16_ffEEvb20rocsparse_direction_T3_S2_llNS_24const_host_device_scalarIT7_EEPKT2_PKS2_PKT4_S2_PKT5_llS5_PT6_ll16rocsparse_order_21rocsparse_index_base_b, .Lfunc_end59-_ZN9rocsparseL31bsrmm_large_blockdim_kernel_extILj32ELj32ELj2EllDF16_DF16_ffEEvb20rocsparse_direction_T3_S2_llNS_24const_host_device_scalarIT7_EEPKT2_PKS2_PKT4_S2_PKT5_llS5_PT6_ll16rocsparse_order_21rocsparse_index_base_b
                                        ; -- End function
	.set _ZN9rocsparseL31bsrmm_large_blockdim_kernel_extILj32ELj32ELj2EllDF16_DF16_ffEEvb20rocsparse_direction_T3_S2_llNS_24const_host_device_scalarIT7_EEPKT2_PKS2_PKT4_S2_PKT5_llS5_PT6_ll16rocsparse_order_21rocsparse_index_base_b.num_vgpr, 32
	.set _ZN9rocsparseL31bsrmm_large_blockdim_kernel_extILj32ELj32ELj2EllDF16_DF16_ffEEvb20rocsparse_direction_T3_S2_llNS_24const_host_device_scalarIT7_EEPKT2_PKS2_PKT4_S2_PKT5_llS5_PT6_ll16rocsparse_order_21rocsparse_index_base_b.num_agpr, 0
	.set _ZN9rocsparseL31bsrmm_large_blockdim_kernel_extILj32ELj32ELj2EllDF16_DF16_ffEEvb20rocsparse_direction_T3_S2_llNS_24const_host_device_scalarIT7_EEPKT2_PKS2_PKT4_S2_PKT5_llS5_PT6_ll16rocsparse_order_21rocsparse_index_base_b.numbered_sgpr, 48
	.set _ZN9rocsparseL31bsrmm_large_blockdim_kernel_extILj32ELj32ELj2EllDF16_DF16_ffEEvb20rocsparse_direction_T3_S2_llNS_24const_host_device_scalarIT7_EEPKT2_PKS2_PKT4_S2_PKT5_llS5_PT6_ll16rocsparse_order_21rocsparse_index_base_b.num_named_barrier, 0
	.set _ZN9rocsparseL31bsrmm_large_blockdim_kernel_extILj32ELj32ELj2EllDF16_DF16_ffEEvb20rocsparse_direction_T3_S2_llNS_24const_host_device_scalarIT7_EEPKT2_PKS2_PKT4_S2_PKT5_llS5_PT6_ll16rocsparse_order_21rocsparse_index_base_b.private_seg_size, 0
	.set _ZN9rocsparseL31bsrmm_large_blockdim_kernel_extILj32ELj32ELj2EllDF16_DF16_ffEEvb20rocsparse_direction_T3_S2_llNS_24const_host_device_scalarIT7_EEPKT2_PKS2_PKT4_S2_PKT5_llS5_PT6_ll16rocsparse_order_21rocsparse_index_base_b.uses_vcc, 1
	.set _ZN9rocsparseL31bsrmm_large_blockdim_kernel_extILj32ELj32ELj2EllDF16_DF16_ffEEvb20rocsparse_direction_T3_S2_llNS_24const_host_device_scalarIT7_EEPKT2_PKS2_PKT4_S2_PKT5_llS5_PT6_ll16rocsparse_order_21rocsparse_index_base_b.uses_flat_scratch, 0
	.set _ZN9rocsparseL31bsrmm_large_blockdim_kernel_extILj32ELj32ELj2EllDF16_DF16_ffEEvb20rocsparse_direction_T3_S2_llNS_24const_host_device_scalarIT7_EEPKT2_PKS2_PKT4_S2_PKT5_llS5_PT6_ll16rocsparse_order_21rocsparse_index_base_b.has_dyn_sized_stack, 0
	.set _ZN9rocsparseL31bsrmm_large_blockdim_kernel_extILj32ELj32ELj2EllDF16_DF16_ffEEvb20rocsparse_direction_T3_S2_llNS_24const_host_device_scalarIT7_EEPKT2_PKS2_PKT4_S2_PKT5_llS5_PT6_ll16rocsparse_order_21rocsparse_index_base_b.has_recursion, 0
	.set _ZN9rocsparseL31bsrmm_large_blockdim_kernel_extILj32ELj32ELj2EllDF16_DF16_ffEEvb20rocsparse_direction_T3_S2_llNS_24const_host_device_scalarIT7_EEPKT2_PKS2_PKT4_S2_PKT5_llS5_PT6_ll16rocsparse_order_21rocsparse_index_base_b.has_indirect_call, 0
	.section	.AMDGPU.csdata,"",@progbits
; Kernel info:
; codeLenInByte = 1792
; TotalNumSgprs: 54
; NumVgprs: 32
; NumAgprs: 0
; TotalNumVgprs: 32
; ScratchSize: 0
; MemoryBound: 0
; FloatMode: 240
; IeeeMode: 1
; LDSByteSize: 12288 bytes/workgroup (compile time only)
; SGPRBlocks: 6
; VGPRBlocks: 3
; NumSGPRsForWavesPerEU: 54
; NumVGPRsForWavesPerEU: 32
; AccumOffset: 32
; Occupancy: 8
; WaveLimiterHint : 1
; COMPUTE_PGM_RSRC2:SCRATCH_EN: 0
; COMPUTE_PGM_RSRC2:USER_SGPR: 2
; COMPUTE_PGM_RSRC2:TRAP_HANDLER: 0
; COMPUTE_PGM_RSRC2:TGID_X_EN: 1
; COMPUTE_PGM_RSRC2:TGID_Y_EN: 1
; COMPUTE_PGM_RSRC2:TGID_Z_EN: 0
; COMPUTE_PGM_RSRC2:TIDIG_COMP_CNT: 1
; COMPUTE_PGM_RSRC3_GFX90A:ACCUM_OFFSET: 7
; COMPUTE_PGM_RSRC3_GFX90A:TG_SPLIT: 0
	.section	.text._ZN9rocsparseL31bsrmm_large_blockdim_kernel_extILj8ELj8ELj2EiiaaiiEEvb20rocsparse_direction_T3_S2_llNS_24const_host_device_scalarIT7_EEPKT2_PKS2_PKT4_S2_PKT5_llS5_PT6_ll16rocsparse_order_21rocsparse_index_base_b,"axG",@progbits,_ZN9rocsparseL31bsrmm_large_blockdim_kernel_extILj8ELj8ELj2EiiaaiiEEvb20rocsparse_direction_T3_S2_llNS_24const_host_device_scalarIT7_EEPKT2_PKS2_PKT4_S2_PKT5_llS5_PT6_ll16rocsparse_order_21rocsparse_index_base_b,comdat
	.globl	_ZN9rocsparseL31bsrmm_large_blockdim_kernel_extILj8ELj8ELj2EiiaaiiEEvb20rocsparse_direction_T3_S2_llNS_24const_host_device_scalarIT7_EEPKT2_PKS2_PKT4_S2_PKT5_llS5_PT6_ll16rocsparse_order_21rocsparse_index_base_b ; -- Begin function _ZN9rocsparseL31bsrmm_large_blockdim_kernel_extILj8ELj8ELj2EiiaaiiEEvb20rocsparse_direction_T3_S2_llNS_24const_host_device_scalarIT7_EEPKT2_PKS2_PKT4_S2_PKT5_llS5_PT6_ll16rocsparse_order_21rocsparse_index_base_b
	.p2align	8
	.type	_ZN9rocsparseL31bsrmm_large_blockdim_kernel_extILj8ELj8ELj2EiiaaiiEEvb20rocsparse_direction_T3_S2_llNS_24const_host_device_scalarIT7_EEPKT2_PKS2_PKT4_S2_PKT5_llS5_PT6_ll16rocsparse_order_21rocsparse_index_base_b,@function
_ZN9rocsparseL31bsrmm_large_blockdim_kernel_extILj8ELj8ELj2EiiaaiiEEvb20rocsparse_direction_T3_S2_llNS_24const_host_device_scalarIT7_EEPKT2_PKS2_PKT4_S2_PKT5_llS5_PT6_ll16rocsparse_order_21rocsparse_index_base_b: ; @_ZN9rocsparseL31bsrmm_large_blockdim_kernel_extILj8ELj8ELj2EiiaaiiEEvb20rocsparse_direction_T3_S2_llNS_24const_host_device_scalarIT7_EEPKT2_PKS2_PKT4_S2_PKT5_llS5_PT6_ll16rocsparse_order_21rocsparse_index_base_b
; %bb.0:
	s_load_dwordx4 s[16:19], s[0:1], 0x80
	s_load_dwordx2 s[10:11], s[0:1], 0x20
	s_mov_b32 s4, s3
	s_mov_b64 s[12:13], -1
                                        ; implicit-def: $sgpr33
	s_waitcnt lgkmcnt(0)
	s_bitcmp1_b32 s18, 0
	s_cselect_b64 s[6:7], -1, 0
	s_xor_b64 s[8:9], s[6:7], -1
	s_and_b64 vcc, exec, s[8:9]
	s_cbranch_vccnz .LBB60_4
; %bb.1:
	s_load_dwordx2 s[6:7], s[0:1], 0x60
	s_andn2_b64 vcc, exec, s[12:13]
	s_cbranch_vccz .LBB60_5
.LBB60_2:
	s_and_b64 vcc, exec, s[8:9]
	s_cbranch_vccz .LBB60_6
.LBB60_3:
	s_waitcnt lgkmcnt(0)
	s_load_dword s36, s[6:7], 0x0
	s_cbranch_execz .LBB60_7
	s_branch .LBB60_8
.LBB60_4:
	s_load_dword s33, s[10:11], 0x0
	s_load_dwordx2 s[6:7], s[0:1], 0x60
	s_cbranch_execnz .LBB60_2
.LBB60_5:
	s_waitcnt lgkmcnt(0)
	s_mov_b32 s33, s10
	s_and_b64 vcc, exec, s[8:9]
	s_cbranch_vccnz .LBB60_3
.LBB60_6:
                                        ; implicit-def: $sgpr36
.LBB60_7:
	s_waitcnt lgkmcnt(0)
	s_mov_b32 s36, s6
.LBB60_8:
	s_waitcnt lgkmcnt(0)
	s_cmp_eq_u32 s33, 0
	s_cselect_b64 s[6:7], -1, 0
	s_cmp_eq_u32 s36, 1
	s_cselect_b64 s[8:9], -1, 0
	s_and_b64 s[6:7], s[6:7], s[8:9]
	s_mov_b32 s28, 0
	s_and_b64 vcc, exec, s[6:7]
	s_cbranch_vccnz .LBB60_53
; %bb.9:
	s_load_dwordx4 s[12:15], s[0:1], 0x0
	s_load_dwordx2 s[6:7], s[0:1], 0x28
	s_waitcnt lgkmcnt(0)
	s_cmp_lt_i32 s2, s14
	s_cselect_b64 s[18:19], -1, 0
	s_cmp_ge_i32 s2, s14
	s_cbranch_scc1 .LBB60_11
; %bb.10:
	s_ashr_i32 s3, s2, 31
	s_lshl_b64 s[8:9], s[2:3], 2
	s_add_u32 s8, s6, s8
	s_addc_u32 s9, s7, s9
	s_load_dword s3, s[8:9], 0x0
	s_waitcnt lgkmcnt(0)
	s_sub_i32 s28, s3, s17
.LBB60_11:
	s_andn2_b64 vcc, exec, s[18:19]
	s_mov_b32 s14, 0
	s_cbranch_vccnz .LBB60_13
; %bb.12:
	s_ashr_i32 s3, s2, 31
	s_lshl_b64 s[8:9], s[2:3], 2
	s_add_u32 s6, s6, s8
	s_addc_u32 s7, s7, s9
	s_load_dword s3, s[6:7], 0x4
	s_waitcnt lgkmcnt(0)
	s_sub_i32 s14, s3, s17
.LBB60_13:
	s_load_dwordx2 s[30:31], s[0:1], 0x68
	s_load_dword s3, s[0:1], 0x40
	v_bfe_u32 v8, v0, 10, 10
	v_lshl_add_u32 v4, s4, 4, v8
	v_add_u32_e32 v2, 8, v4
	v_and_b32_e32 v6, 0x3ff, v0
	s_waitcnt lgkmcnt(0)
	v_cmp_gt_i32_e32 vcc, s3, v6
	s_cmp_ge_i32 s28, s14
	v_cmp_gt_i32_e64 s[4:5], s15, v4
	v_cmp_gt_i32_e64 s[6:7], s15, v2
	s_cbranch_scc1 .LBB60_32
; %bb.14:
	s_load_dwordx4 s[20:23], s[0:1], 0x30
	s_load_dwordx4 s[24:27], s[0:1], 0x48
	v_cmp_gt_i32_e64 s[8:9], s3, v8
	s_and_b64 s[34:35], vcc, s[8:9]
	v_mov_b32_e32 v0, 0x200
	v_lshlrev_b32_e32 v7, 5, v8
	s_bitcmp1_b32 s12, 0
	v_lshl_add_u32 v14, v8, 2, v0
	v_mad_u64_u32 v[0:1], s[10:11], s3, v8, v[6:7]
	v_ashrrev_i32_e32 v5, 31, v4
	s_cselect_b64 s[8:9], -1, 0
	s_cmp_eq_u32 s13, 0
	v_mad_u64_u32 v[12:13], s[10:11], s3, v6, v[8:9]
	s_waitcnt lgkmcnt(0)
	v_mul_lo_u32 v1, s27, v4
	v_mul_lo_u32 v3, s26, v5
	v_mad_u64_u32 v[8:9], s[10:11], s26, v4, 0
	v_mad_u64_u32 v[10:11], s[10:11], s26, v2, 0
	v_add3_u32 v9, v9, v3, v1
	v_ashrrev_i32_e32 v3, 31, v2
	s_cselect_b64 s[10:11], -1, 0
	v_lshlrev_b32_e32 v15, 2, v6
	v_lshlrev_b32_e32 v20, 5, v6
	v_mul_lo_u32 v1, s27, v2
	v_mul_lo_u32 v13, s26, v3
	v_cndmask_b32_e64 v16, v0, v12, s[10:11]
	v_mov_b32_e32 v0, 0
	s_mul_i32 s37, s3, s3
	v_add3_u32 v11, v11, v13, v1
	v_add_u32_e32 v17, 0x200, v20
	v_add_u32_e32 v18, 0x100, v7
	v_mov_b32_e32 v1, v0
	v_add_u32_e32 v19, v15, v7
	v_add_u32_e32 v20, v14, v20
	s_branch .LBB60_17
.LBB60_15:                              ;   in Loop: Header=BB60_17 Depth=1
	s_or_b64 exec, exec, s[12:13]
.LBB60_16:                              ;   in Loop: Header=BB60_17 Depth=1
	s_or_b64 exec, exec, s[10:11]
	s_add_i32 s28, s28, 1
	s_cmp_ge_i32 s28, s14
	; wave barrier
	s_cbranch_scc1 .LBB60_33
.LBB60_17:                              ; =>This Loop Header: Depth=1
                                        ;     Child Loop BB60_27 Depth 2
                                        ;     Child Loop BB60_31 Depth 2
	s_and_saveexec_b64 s[10:11], vcc
	s_cbranch_execz .LBB60_22
; %bb.18:                               ;   in Loop: Header=BB60_17 Depth=1
	s_ashr_i32 s29, s28, 31
	s_lshl_b64 s[12:13], s[28:29], 2
	s_add_u32 s12, s20, s12
	s_addc_u32 s13, s21, s13
	s_load_dword s12, s[12:13], 0x0
	v_mov_b64_e32 v[12:13], s[24:25]
	s_waitcnt lgkmcnt(0)
	s_sub_i32 s12, s12, s17
	s_mul_i32 s12, s12, s3
	v_add_u32_e32 v14, s12, v6
	v_ashrrev_i32_e32 v15, 31, v14
	v_mul_lo_u32 v21, s27, v14
	v_mad_u64_u32 v[12:13], s[12:13], s26, v14, v[12:13]
	v_mul_lo_u32 v22, s26, v15
	v_add3_u32 v13, v21, v13, v22
	v_lshl_add_u64 v[14:15], s[24:25], 0, v[14:15]
	s_and_saveexec_b64 s[12:13], s[4:5]
	s_cbranch_execz .LBB60_20
; %bb.19:                               ;   in Loop: Header=BB60_17 Depth=1
	v_lshl_add_u64 v[22:23], v[12:13], 0, v[4:5]
	v_lshl_add_u64 v[24:25], v[14:15], 0, v[8:9]
	v_cndmask_b32_e64 v23, v23, v25, s[8:9]
	v_cndmask_b32_e64 v22, v22, v24, s[8:9]
	global_load_sbyte v21, v[22:23], off
	s_waitcnt vmcnt(0)
	ds_write_b32 v19, v21
.LBB60_20:                              ;   in Loop: Header=BB60_17 Depth=1
	s_or_b64 exec, exec, s[12:13]
	s_and_b64 exec, exec, s[6:7]
	s_cbranch_execz .LBB60_22
; %bb.21:                               ;   in Loop: Header=BB60_17 Depth=1
	v_lshl_add_u64 v[14:15], v[14:15], 0, v[10:11]
	v_lshl_add_u64 v[12:13], v[12:13], 0, v[2:3]
	v_cndmask_b32_e64 v13, v13, v15, s[8:9]
	v_cndmask_b32_e64 v12, v12, v14, s[8:9]
	global_load_sbyte v12, v[12:13], off
	s_waitcnt vmcnt(0)
	ds_write_b32 v19, v12 offset:256
.LBB60_22:                              ;   in Loop: Header=BB60_17 Depth=1
	s_or_b64 exec, exec, s[10:11]
	s_and_saveexec_b64 s[10:11], s[34:35]
	s_cbranch_execz .LBB60_24
; %bb.23:                               ;   in Loop: Header=BB60_17 Depth=1
	s_mul_i32 s12, s37, s28
	v_add_u32_e32 v12, s12, v16
	v_ashrrev_i32_e32 v13, 31, v12
	v_lshl_add_u64 v[12:13], s[22:23], 0, v[12:13]
	global_load_sbyte v12, v[12:13], off
	s_waitcnt vmcnt(0)
	ds_write_b32 v20, v12
.LBB60_24:                              ;   in Loop: Header=BB60_17 Depth=1
	s_or_b64 exec, exec, s[10:11]
	s_waitcnt lgkmcnt(0)
	; wave barrier
	s_and_saveexec_b64 s[10:11], vcc
	s_cbranch_execz .LBB60_16
; %bb.25:                               ;   in Loop: Header=BB60_17 Depth=1
	s_and_saveexec_b64 s[12:13], s[4:5]
	s_cbranch_execz .LBB60_29
; %bb.26:                               ;   in Loop: Header=BB60_17 Depth=1
	v_mov_b32_e32 v14, v17
	v_mov_b32_e32 v15, v7
	s_mov_b32 s29, s3
.LBB60_27:                              ;   Parent Loop BB60_17 Depth=1
                                        ; =>  This Inner Loop Header: Depth=2
	ds_read_b32 v12, v14
	ds_read_b32 v13, v15
	s_add_i32 s29, s29, -1
	v_add_u32_e32 v15, 4, v15
	v_add_u32_e32 v14, 4, v14
	s_cmp_lg_u32 s29, 0
	s_waitcnt lgkmcnt(0)
	v_mad_u64_u32 v[12:13], s[38:39], v13, v12, v[0:1]
	v_mov_b32_e32 v13, v1
	v_mov_b64_e32 v[0:1], v[12:13]
	s_cbranch_scc1 .LBB60_27
; %bb.28:                               ;   in Loop: Header=BB60_17 Depth=1
	v_mov_b64_e32 v[0:1], v[12:13]
.LBB60_29:                              ;   in Loop: Header=BB60_17 Depth=1
	s_or_b64 exec, exec, s[12:13]
	s_and_saveexec_b64 s[12:13], s[6:7]
	s_cbranch_execz .LBB60_15
; %bb.30:                               ;   in Loop: Header=BB60_17 Depth=1
	v_mov_b32_e32 v12, v17
	s_mov_b32 s29, s3
	v_mov_b32_e32 v13, v18
.LBB60_31:                              ;   Parent Loop BB60_17 Depth=1
                                        ; =>  This Inner Loop Header: Depth=2
	ds_read_b32 v15, v12
	ds_read_b32 v21, v13
	v_mov_b32_e32 v14, v1
	s_add_i32 s29, s29, -1
	v_add_u32_e32 v13, 4, v13
	v_add_u32_e32 v12, 4, v12
	s_waitcnt lgkmcnt(0)
	v_mad_u64_u32 v[14:15], s[38:39], v21, v15, v[14:15]
	s_cmp_lg_u32 s29, 0
	v_mov_b32_e32 v1, v14
	s_cbranch_scc1 .LBB60_31
	s_branch .LBB60_15
.LBB60_32:
	v_mov_b32_e32 v0, 0
	v_mov_b32_e32 v1, v0
.LBB60_33:
	s_and_b64 s[4:5], s[18:19], vcc
	s_and_saveexec_b64 s[6:7], s[4:5]
	s_cbranch_execz .LBB60_53
; %bb.34:
	s_mul_i32 s2, s3, s2
	v_add_u32_e32 v6, s2, v6
	s_load_dwordx2 s[2:3], s[0:1], 0x70
	v_ashrrev_i32_e32 v7, 31, v6
	s_cmp_lg_u32 s36, 0
	s_cselect_b64 s[0:1], -1, 0
	s_cmp_lg_u32 s16, 1
	s_waitcnt lgkmcnt(0)
	v_mul_lo_u32 v3, s2, v7
	v_mul_lo_u32 v5, s3, v6
	v_mad_u64_u32 v[8:9], s[6:7], s2, v6, 0
	v_add3_u32 v9, v9, v3, v5
	s_cselect_b64 s[4:5], -1, 0
	v_lshl_add_u64 v[8:9], v[8:9], 2, s[30:31]
	v_lshl_add_u64 v[6:7], v[6:7], 2, s[30:31]
	v_cmp_gt_i32_e32 vcc, s15, v4
	s_and_saveexec_b64 s[6:7], vcc
	s_cbranch_execz .LBB60_46
; %bb.35:
	s_and_b64 vcc, exec, s[0:1]
	v_ashrrev_i32_e32 v5, 31, v4
	s_mov_b64 s[8:9], -1
	s_cbranch_vccz .LBB60_41
; %bb.36:
	s_and_b64 vcc, exec, s[4:5]
	s_cbranch_vccz .LBB60_38
; %bb.37:
	v_lshl_add_u64 v[10:11], v[4:5], 2, v[8:9]
	global_load_dword v3, v[10:11], off
	v_mul_lo_u32 v12, v0, s33
	s_waitcnt vmcnt(0)
	v_mad_u64_u32 v[12:13], s[8:9], v3, s36, v[12:13]
	global_store_dword v[10:11], v12, off
	s_mov_b64 s[8:9], 0
.LBB60_38:
	s_andn2_b64 vcc, exec, s[8:9]
	s_cbranch_vccnz .LBB60_40
; %bb.39:
	v_mul_lo_u32 v3, s3, v4
	v_mul_lo_u32 v12, s2, v5
	v_mad_u64_u32 v[10:11], s[8:9], s2, v4, 0
	v_add3_u32 v11, v11, v12, v3
	v_lshl_add_u64 v[10:11], v[10:11], 2, v[6:7]
	global_load_dword v3, v[10:11], off
	v_mul_lo_u32 v12, v0, s33
	s_waitcnt vmcnt(0)
	v_mad_u64_u32 v[12:13], s[8:9], v3, s36, v[12:13]
	global_store_dword v[10:11], v12, off
.LBB60_40:
	s_mov_b64 s[8:9], 0
.LBB60_41:
	s_andn2_b64 vcc, exec, s[8:9]
	s_cbranch_vccnz .LBB60_46
; %bb.42:
	v_mul_lo_u32 v0, v0, s33
	s_mov_b64 s[8:9], -1
	s_and_b64 vcc, exec, s[4:5]
	s_cbranch_vccz .LBB60_44
; %bb.43:
	v_lshl_add_u64 v[10:11], v[4:5], 2, v[8:9]
	global_store_dword v[10:11], v0, off
	s_mov_b64 s[8:9], 0
.LBB60_44:
	s_andn2_b64 vcc, exec, s[8:9]
	s_cbranch_vccnz .LBB60_46
; %bb.45:
	v_mul_lo_u32 v3, s3, v4
	v_mul_lo_u32 v10, s2, v5
	v_mad_u64_u32 v[4:5], s[8:9], s2, v4, 0
	v_add3_u32 v5, v5, v10, v3
	v_lshl_add_u64 v[4:5], v[4:5], 2, v[6:7]
	global_store_dword v[4:5], v0, off
.LBB60_46:
	s_or_b64 exec, exec, s[6:7]
	v_cmp_gt_i32_e32 vcc, s15, v2
	s_and_b64 exec, exec, vcc
	s_cbranch_execz .LBB60_53
; %bb.47:
	v_cndmask_b32_e64 v0, 0, 1, s[4:5]
	s_andn2_b64 vcc, exec, s[0:1]
	v_ashrrev_i32_e32 v3, 31, v2
	v_cmp_ne_u32_e64 s[0:1], 1, v0
	s_cbranch_vccnz .LBB60_54
; %bb.48:
	s_and_b64 vcc, exec, s[0:1]
	s_mov_b64 s[4:5], -1
	s_cbranch_vccnz .LBB60_50
; %bb.49:
	v_lshl_add_u64 v[4:5], v[2:3], 2, v[8:9]
	global_load_dword v10, v[4:5], off
	v_mul_lo_u32 v0, v1, s33
	s_waitcnt vmcnt(0)
	v_mad_u64_u32 v[10:11], s[4:5], v10, s36, v[0:1]
	s_mov_b64 s[4:5], 0
	global_store_dword v[4:5], v10, off
.LBB60_50:
	s_andn2_b64 vcc, exec, s[4:5]
	s_cbranch_vccnz .LBB60_52
; %bb.51:
	v_mul_lo_u32 v0, s3, v2
	v_mul_lo_u32 v10, s2, v3
	v_mad_u64_u32 v[4:5], s[4:5], s2, v2, 0
	v_add3_u32 v5, v5, v10, v0
	v_lshl_add_u64 v[4:5], v[4:5], 2, v[6:7]
	global_load_dword v10, v[4:5], off
	v_mul_lo_u32 v0, v1, s33
	s_waitcnt vmcnt(0)
	v_mad_u64_u32 v[10:11], s[4:5], v10, s36, v[0:1]
	global_store_dword v[4:5], v10, off
.LBB60_52:
	s_cbranch_execz .LBB60_55
.LBB60_53:
	s_endpgm
.LBB60_54:
.LBB60_55:
	v_mul_lo_u32 v0, v1, s33
	s_and_b64 vcc, exec, s[0:1]
	s_mov_b64 s[0:1], -1
	s_cbranch_vccnz .LBB60_57
; %bb.56:
	v_lshl_add_u64 v[4:5], v[2:3], 2, v[8:9]
	s_mov_b64 s[0:1], 0
	global_store_dword v[4:5], v0, off
.LBB60_57:
	s_andn2_b64 vcc, exec, s[0:1]
	s_cbranch_vccnz .LBB60_53
; %bb.58:
	v_mul_lo_u32 v1, s3, v2
	v_mul_lo_u32 v4, s2, v3
	v_mad_u64_u32 v[2:3], s[0:1], s2, v2, 0
	v_add3_u32 v3, v3, v4, v1
	v_lshl_add_u64 v[2:3], v[2:3], 2, v[6:7]
	global_store_dword v[2:3], v0, off
	s_endpgm
	.section	.rodata,"a",@progbits
	.p2align	6, 0x0
	.amdhsa_kernel _ZN9rocsparseL31bsrmm_large_blockdim_kernel_extILj8ELj8ELj2EiiaaiiEEvb20rocsparse_direction_T3_S2_llNS_24const_host_device_scalarIT7_EEPKT2_PKS2_PKT4_S2_PKT5_llS5_PT6_ll16rocsparse_order_21rocsparse_index_base_b
		.amdhsa_group_segment_fixed_size 768
		.amdhsa_private_segment_fixed_size 0
		.amdhsa_kernarg_size 140
		.amdhsa_user_sgpr_count 2
		.amdhsa_user_sgpr_dispatch_ptr 0
		.amdhsa_user_sgpr_queue_ptr 0
		.amdhsa_user_sgpr_kernarg_segment_ptr 1
		.amdhsa_user_sgpr_dispatch_id 0
		.amdhsa_user_sgpr_kernarg_preload_length 0
		.amdhsa_user_sgpr_kernarg_preload_offset 0
		.amdhsa_user_sgpr_private_segment_size 0
		.amdhsa_uses_dynamic_stack 0
		.amdhsa_enable_private_segment 0
		.amdhsa_system_sgpr_workgroup_id_x 1
		.amdhsa_system_sgpr_workgroup_id_y 1
		.amdhsa_system_sgpr_workgroup_id_z 0
		.amdhsa_system_sgpr_workgroup_info 0
		.amdhsa_system_vgpr_workitem_id 1
		.amdhsa_next_free_vgpr 26
		.amdhsa_next_free_sgpr 40
		.amdhsa_accum_offset 28
		.amdhsa_reserve_vcc 1
		.amdhsa_float_round_mode_32 0
		.amdhsa_float_round_mode_16_64 0
		.amdhsa_float_denorm_mode_32 3
		.amdhsa_float_denorm_mode_16_64 3
		.amdhsa_dx10_clamp 1
		.amdhsa_ieee_mode 1
		.amdhsa_fp16_overflow 0
		.amdhsa_tg_split 0
		.amdhsa_exception_fp_ieee_invalid_op 0
		.amdhsa_exception_fp_denorm_src 0
		.amdhsa_exception_fp_ieee_div_zero 0
		.amdhsa_exception_fp_ieee_overflow 0
		.amdhsa_exception_fp_ieee_underflow 0
		.amdhsa_exception_fp_ieee_inexact 0
		.amdhsa_exception_int_div_zero 0
	.end_amdhsa_kernel
	.section	.text._ZN9rocsparseL31bsrmm_large_blockdim_kernel_extILj8ELj8ELj2EiiaaiiEEvb20rocsparse_direction_T3_S2_llNS_24const_host_device_scalarIT7_EEPKT2_PKS2_PKT4_S2_PKT5_llS5_PT6_ll16rocsparse_order_21rocsparse_index_base_b,"axG",@progbits,_ZN9rocsparseL31bsrmm_large_blockdim_kernel_extILj8ELj8ELj2EiiaaiiEEvb20rocsparse_direction_T3_S2_llNS_24const_host_device_scalarIT7_EEPKT2_PKS2_PKT4_S2_PKT5_llS5_PT6_ll16rocsparse_order_21rocsparse_index_base_b,comdat
.Lfunc_end60:
	.size	_ZN9rocsparseL31bsrmm_large_blockdim_kernel_extILj8ELj8ELj2EiiaaiiEEvb20rocsparse_direction_T3_S2_llNS_24const_host_device_scalarIT7_EEPKT2_PKS2_PKT4_S2_PKT5_llS5_PT6_ll16rocsparse_order_21rocsparse_index_base_b, .Lfunc_end60-_ZN9rocsparseL31bsrmm_large_blockdim_kernel_extILj8ELj8ELj2EiiaaiiEEvb20rocsparse_direction_T3_S2_llNS_24const_host_device_scalarIT7_EEPKT2_PKS2_PKT4_S2_PKT5_llS5_PT6_ll16rocsparse_order_21rocsparse_index_base_b
                                        ; -- End function
	.set _ZN9rocsparseL31bsrmm_large_blockdim_kernel_extILj8ELj8ELj2EiiaaiiEEvb20rocsparse_direction_T3_S2_llNS_24const_host_device_scalarIT7_EEPKT2_PKS2_PKT4_S2_PKT5_llS5_PT6_ll16rocsparse_order_21rocsparse_index_base_b.num_vgpr, 26
	.set _ZN9rocsparseL31bsrmm_large_blockdim_kernel_extILj8ELj8ELj2EiiaaiiEEvb20rocsparse_direction_T3_S2_llNS_24const_host_device_scalarIT7_EEPKT2_PKS2_PKT4_S2_PKT5_llS5_PT6_ll16rocsparse_order_21rocsparse_index_base_b.num_agpr, 0
	.set _ZN9rocsparseL31bsrmm_large_blockdim_kernel_extILj8ELj8ELj2EiiaaiiEEvb20rocsparse_direction_T3_S2_llNS_24const_host_device_scalarIT7_EEPKT2_PKS2_PKT4_S2_PKT5_llS5_PT6_ll16rocsparse_order_21rocsparse_index_base_b.numbered_sgpr, 40
	.set _ZN9rocsparseL31bsrmm_large_blockdim_kernel_extILj8ELj8ELj2EiiaaiiEEvb20rocsparse_direction_T3_S2_llNS_24const_host_device_scalarIT7_EEPKT2_PKS2_PKT4_S2_PKT5_llS5_PT6_ll16rocsparse_order_21rocsparse_index_base_b.num_named_barrier, 0
	.set _ZN9rocsparseL31bsrmm_large_blockdim_kernel_extILj8ELj8ELj2EiiaaiiEEvb20rocsparse_direction_T3_S2_llNS_24const_host_device_scalarIT7_EEPKT2_PKS2_PKT4_S2_PKT5_llS5_PT6_ll16rocsparse_order_21rocsparse_index_base_b.private_seg_size, 0
	.set _ZN9rocsparseL31bsrmm_large_blockdim_kernel_extILj8ELj8ELj2EiiaaiiEEvb20rocsparse_direction_T3_S2_llNS_24const_host_device_scalarIT7_EEPKT2_PKS2_PKT4_S2_PKT5_llS5_PT6_ll16rocsparse_order_21rocsparse_index_base_b.uses_vcc, 1
	.set _ZN9rocsparseL31bsrmm_large_blockdim_kernel_extILj8ELj8ELj2EiiaaiiEEvb20rocsparse_direction_T3_S2_llNS_24const_host_device_scalarIT7_EEPKT2_PKS2_PKT4_S2_PKT5_llS5_PT6_ll16rocsparse_order_21rocsparse_index_base_b.uses_flat_scratch, 0
	.set _ZN9rocsparseL31bsrmm_large_blockdim_kernel_extILj8ELj8ELj2EiiaaiiEEvb20rocsparse_direction_T3_S2_llNS_24const_host_device_scalarIT7_EEPKT2_PKS2_PKT4_S2_PKT5_llS5_PT6_ll16rocsparse_order_21rocsparse_index_base_b.has_dyn_sized_stack, 0
	.set _ZN9rocsparseL31bsrmm_large_blockdim_kernel_extILj8ELj8ELj2EiiaaiiEEvb20rocsparse_direction_T3_S2_llNS_24const_host_device_scalarIT7_EEPKT2_PKS2_PKT4_S2_PKT5_llS5_PT6_ll16rocsparse_order_21rocsparse_index_base_b.has_recursion, 0
	.set _ZN9rocsparseL31bsrmm_large_blockdim_kernel_extILj8ELj8ELj2EiiaaiiEEvb20rocsparse_direction_T3_S2_llNS_24const_host_device_scalarIT7_EEPKT2_PKS2_PKT4_S2_PKT5_llS5_PT6_ll16rocsparse_order_21rocsparse_index_base_b.has_indirect_call, 0
	.section	.AMDGPU.csdata,"",@progbits
; Kernel info:
; codeLenInByte = 1724
; TotalNumSgprs: 46
; NumVgprs: 26
; NumAgprs: 0
; TotalNumVgprs: 26
; ScratchSize: 0
; MemoryBound: 0
; FloatMode: 240
; IeeeMode: 1
; LDSByteSize: 768 bytes/workgroup (compile time only)
; SGPRBlocks: 5
; VGPRBlocks: 3
; NumSGPRsForWavesPerEU: 46
; NumVGPRsForWavesPerEU: 26
; AccumOffset: 28
; Occupancy: 8
; WaveLimiterHint : 1
; COMPUTE_PGM_RSRC2:SCRATCH_EN: 0
; COMPUTE_PGM_RSRC2:USER_SGPR: 2
; COMPUTE_PGM_RSRC2:TRAP_HANDLER: 0
; COMPUTE_PGM_RSRC2:TGID_X_EN: 1
; COMPUTE_PGM_RSRC2:TGID_Y_EN: 1
; COMPUTE_PGM_RSRC2:TGID_Z_EN: 0
; COMPUTE_PGM_RSRC2:TIDIG_COMP_CNT: 1
; COMPUTE_PGM_RSRC3_GFX90A:ACCUM_OFFSET: 6
; COMPUTE_PGM_RSRC3_GFX90A:TG_SPLIT: 0
	.section	.text._ZN9rocsparseL31bsrmm_large_blockdim_kernel_extILj4ELj16ELj2EiiaaiiEEvb20rocsparse_direction_T3_S2_llNS_24const_host_device_scalarIT7_EEPKT2_PKS2_PKT4_S2_PKT5_llS5_PT6_ll16rocsparse_order_21rocsparse_index_base_b,"axG",@progbits,_ZN9rocsparseL31bsrmm_large_blockdim_kernel_extILj4ELj16ELj2EiiaaiiEEvb20rocsparse_direction_T3_S2_llNS_24const_host_device_scalarIT7_EEPKT2_PKS2_PKT4_S2_PKT5_llS5_PT6_ll16rocsparse_order_21rocsparse_index_base_b,comdat
	.globl	_ZN9rocsparseL31bsrmm_large_blockdim_kernel_extILj4ELj16ELj2EiiaaiiEEvb20rocsparse_direction_T3_S2_llNS_24const_host_device_scalarIT7_EEPKT2_PKS2_PKT4_S2_PKT5_llS5_PT6_ll16rocsparse_order_21rocsparse_index_base_b ; -- Begin function _ZN9rocsparseL31bsrmm_large_blockdim_kernel_extILj4ELj16ELj2EiiaaiiEEvb20rocsparse_direction_T3_S2_llNS_24const_host_device_scalarIT7_EEPKT2_PKS2_PKT4_S2_PKT5_llS5_PT6_ll16rocsparse_order_21rocsparse_index_base_b
	.p2align	8
	.type	_ZN9rocsparseL31bsrmm_large_blockdim_kernel_extILj4ELj16ELj2EiiaaiiEEvb20rocsparse_direction_T3_S2_llNS_24const_host_device_scalarIT7_EEPKT2_PKS2_PKT4_S2_PKT5_llS5_PT6_ll16rocsparse_order_21rocsparse_index_base_b,@function
_ZN9rocsparseL31bsrmm_large_blockdim_kernel_extILj4ELj16ELj2EiiaaiiEEvb20rocsparse_direction_T3_S2_llNS_24const_host_device_scalarIT7_EEPKT2_PKS2_PKT4_S2_PKT5_llS5_PT6_ll16rocsparse_order_21rocsparse_index_base_b: ; @_ZN9rocsparseL31bsrmm_large_blockdim_kernel_extILj4ELj16ELj2EiiaaiiEEvb20rocsparse_direction_T3_S2_llNS_24const_host_device_scalarIT7_EEPKT2_PKS2_PKT4_S2_PKT5_llS5_PT6_ll16rocsparse_order_21rocsparse_index_base_b
; %bb.0:
	s_load_dwordx4 s[16:19], s[0:1], 0x80
	s_load_dwordx2 s[10:11], s[0:1], 0x20
	s_mov_b32 s4, s3
	s_mov_b64 s[12:13], -1
                                        ; implicit-def: $sgpr33
	s_waitcnt lgkmcnt(0)
	s_bitcmp1_b32 s18, 0
	s_cselect_b64 s[6:7], -1, 0
	s_xor_b64 s[8:9], s[6:7], -1
	s_and_b64 vcc, exec, s[8:9]
	s_cbranch_vccnz .LBB61_4
; %bb.1:
	s_load_dwordx2 s[6:7], s[0:1], 0x60
	s_andn2_b64 vcc, exec, s[12:13]
	s_cbranch_vccz .LBB61_5
.LBB61_2:
	s_and_b64 vcc, exec, s[8:9]
	s_cbranch_vccz .LBB61_6
.LBB61_3:
	s_waitcnt lgkmcnt(0)
	s_load_dword s36, s[6:7], 0x0
	s_cbranch_execz .LBB61_7
	s_branch .LBB61_8
.LBB61_4:
	s_load_dword s33, s[10:11], 0x0
	s_load_dwordx2 s[6:7], s[0:1], 0x60
	s_cbranch_execnz .LBB61_2
.LBB61_5:
	s_waitcnt lgkmcnt(0)
	s_mov_b32 s33, s10
	s_and_b64 vcc, exec, s[8:9]
	s_cbranch_vccnz .LBB61_3
.LBB61_6:
                                        ; implicit-def: $sgpr36
.LBB61_7:
	s_waitcnt lgkmcnt(0)
	s_mov_b32 s36, s6
.LBB61_8:
	s_waitcnt lgkmcnt(0)
	s_cmp_eq_u32 s33, 0
	s_cselect_b64 s[6:7], -1, 0
	s_cmp_eq_u32 s36, 1
	s_cselect_b64 s[8:9], -1, 0
	s_and_b64 s[6:7], s[6:7], s[8:9]
	s_mov_b32 s28, 0
	s_and_b64 vcc, exec, s[6:7]
	s_cbranch_vccnz .LBB61_53
; %bb.9:
	s_load_dwordx4 s[12:15], s[0:1], 0x0
	s_load_dwordx2 s[6:7], s[0:1], 0x28
	s_waitcnt lgkmcnt(0)
	s_cmp_lt_i32 s2, s14
	s_cselect_b64 s[18:19], -1, 0
	s_cmp_ge_i32 s2, s14
	s_cbranch_scc1 .LBB61_11
; %bb.10:
	s_ashr_i32 s3, s2, 31
	s_lshl_b64 s[8:9], s[2:3], 2
	s_add_u32 s8, s6, s8
	s_addc_u32 s9, s7, s9
	s_load_dword s3, s[8:9], 0x0
	s_waitcnt lgkmcnt(0)
	s_sub_i32 s28, s3, s17
.LBB61_11:
	s_andn2_b64 vcc, exec, s[18:19]
	s_mov_b32 s14, 0
	s_cbranch_vccnz .LBB61_13
; %bb.12:
	s_ashr_i32 s3, s2, 31
	s_lshl_b64 s[8:9], s[2:3], 2
	s_add_u32 s6, s6, s8
	s_addc_u32 s7, s7, s9
	s_load_dword s3, s[6:7], 0x4
	s_waitcnt lgkmcnt(0)
	s_sub_i32 s14, s3, s17
.LBB61_13:
	s_load_dwordx2 s[30:31], s[0:1], 0x68
	s_load_dword s3, s[0:1], 0x40
	v_bfe_u32 v8, v0, 10, 10
	v_lshl_add_u32 v4, s4, 5, v8
	v_add_u32_e32 v2, 16, v4
	v_and_b32_e32 v6, 0x3ff, v0
	s_waitcnt lgkmcnt(0)
	v_cmp_gt_i32_e32 vcc, s3, v6
	s_cmp_ge_i32 s28, s14
	v_cmp_gt_i32_e64 s[4:5], s15, v4
	v_cmp_gt_i32_e64 s[6:7], s15, v2
	s_cbranch_scc1 .LBB61_32
; %bb.14:
	s_load_dwordx4 s[20:23], s[0:1], 0x30
	s_load_dwordx4 s[24:27], s[0:1], 0x48
	v_cmp_gt_i32_e64 s[8:9], s3, v8
	s_and_b64 s[34:35], vcc, s[8:9]
	v_mov_b32_e32 v0, 0x200
	v_lshlrev_b32_e32 v7, 4, v8
	s_bitcmp1_b32 s12, 0
	v_lshl_add_u32 v14, v8, 2, v0
	v_mad_u64_u32 v[0:1], s[10:11], s3, v8, v[6:7]
	v_ashrrev_i32_e32 v5, 31, v4
	s_cselect_b64 s[8:9], -1, 0
	s_cmp_eq_u32 s13, 0
	v_mad_u64_u32 v[12:13], s[10:11], s3, v6, v[8:9]
	s_waitcnt lgkmcnt(0)
	v_mul_lo_u32 v1, s27, v4
	v_mul_lo_u32 v3, s26, v5
	v_mad_u64_u32 v[8:9], s[10:11], s26, v4, 0
	v_mad_u64_u32 v[10:11], s[10:11], s26, v2, 0
	v_add3_u32 v9, v9, v3, v1
	v_ashrrev_i32_e32 v3, 31, v2
	s_cselect_b64 s[10:11], -1, 0
	v_lshlrev_b32_e32 v15, 2, v6
	v_lshlrev_b32_e32 v20, 4, v6
	v_mul_lo_u32 v1, s27, v2
	v_mul_lo_u32 v13, s26, v3
	v_cndmask_b32_e64 v16, v0, v12, s[10:11]
	v_mov_b32_e32 v0, 0
	s_mul_i32 s37, s3, s3
	v_add3_u32 v11, v11, v13, v1
	v_add_u32_e32 v17, 0x200, v20
	v_add_u32_e32 v18, 0x100, v7
	v_mov_b32_e32 v1, v0
	v_add_u32_e32 v19, v15, v7
	v_add_u32_e32 v20, v14, v20
	s_branch .LBB61_17
.LBB61_15:                              ;   in Loop: Header=BB61_17 Depth=1
	s_or_b64 exec, exec, s[12:13]
.LBB61_16:                              ;   in Loop: Header=BB61_17 Depth=1
	s_or_b64 exec, exec, s[10:11]
	s_add_i32 s28, s28, 1
	s_cmp_ge_i32 s28, s14
	; wave barrier
	s_cbranch_scc1 .LBB61_33
.LBB61_17:                              ; =>This Loop Header: Depth=1
                                        ;     Child Loop BB61_27 Depth 2
                                        ;     Child Loop BB61_31 Depth 2
	s_and_saveexec_b64 s[10:11], vcc
	s_cbranch_execz .LBB61_22
; %bb.18:                               ;   in Loop: Header=BB61_17 Depth=1
	s_ashr_i32 s29, s28, 31
	s_lshl_b64 s[12:13], s[28:29], 2
	s_add_u32 s12, s20, s12
	s_addc_u32 s13, s21, s13
	s_load_dword s12, s[12:13], 0x0
	v_mov_b64_e32 v[12:13], s[24:25]
	s_waitcnt lgkmcnt(0)
	s_sub_i32 s12, s12, s17
	s_mul_i32 s12, s12, s3
	v_add_u32_e32 v14, s12, v6
	v_ashrrev_i32_e32 v15, 31, v14
	v_mul_lo_u32 v21, s27, v14
	v_mad_u64_u32 v[12:13], s[12:13], s26, v14, v[12:13]
	v_mul_lo_u32 v22, s26, v15
	v_add3_u32 v13, v21, v13, v22
	v_lshl_add_u64 v[14:15], s[24:25], 0, v[14:15]
	s_and_saveexec_b64 s[12:13], s[4:5]
	s_cbranch_execz .LBB61_20
; %bb.19:                               ;   in Loop: Header=BB61_17 Depth=1
	v_lshl_add_u64 v[22:23], v[12:13], 0, v[4:5]
	v_lshl_add_u64 v[24:25], v[14:15], 0, v[8:9]
	v_cndmask_b32_e64 v23, v23, v25, s[8:9]
	v_cndmask_b32_e64 v22, v22, v24, s[8:9]
	global_load_sbyte v21, v[22:23], off
	s_waitcnt vmcnt(0)
	ds_write_b32 v19, v21
.LBB61_20:                              ;   in Loop: Header=BB61_17 Depth=1
	s_or_b64 exec, exec, s[12:13]
	s_and_b64 exec, exec, s[6:7]
	s_cbranch_execz .LBB61_22
; %bb.21:                               ;   in Loop: Header=BB61_17 Depth=1
	v_lshl_add_u64 v[14:15], v[14:15], 0, v[10:11]
	v_lshl_add_u64 v[12:13], v[12:13], 0, v[2:3]
	v_cndmask_b32_e64 v13, v13, v15, s[8:9]
	v_cndmask_b32_e64 v12, v12, v14, s[8:9]
	global_load_sbyte v12, v[12:13], off
	s_waitcnt vmcnt(0)
	ds_write_b32 v19, v12 offset:256
.LBB61_22:                              ;   in Loop: Header=BB61_17 Depth=1
	s_or_b64 exec, exec, s[10:11]
	s_and_saveexec_b64 s[10:11], s[34:35]
	s_cbranch_execz .LBB61_24
; %bb.23:                               ;   in Loop: Header=BB61_17 Depth=1
	s_mul_i32 s12, s37, s28
	v_add_u32_e32 v12, s12, v16
	v_ashrrev_i32_e32 v13, 31, v12
	v_lshl_add_u64 v[12:13], s[22:23], 0, v[12:13]
	global_load_sbyte v12, v[12:13], off
	s_waitcnt vmcnt(0)
	ds_write_b32 v20, v12
.LBB61_24:                              ;   in Loop: Header=BB61_17 Depth=1
	s_or_b64 exec, exec, s[10:11]
	s_waitcnt lgkmcnt(0)
	; wave barrier
	s_and_saveexec_b64 s[10:11], vcc
	s_cbranch_execz .LBB61_16
; %bb.25:                               ;   in Loop: Header=BB61_17 Depth=1
	s_and_saveexec_b64 s[12:13], s[4:5]
	s_cbranch_execz .LBB61_29
; %bb.26:                               ;   in Loop: Header=BB61_17 Depth=1
	v_mov_b32_e32 v14, v17
	v_mov_b32_e32 v15, v7
	s_mov_b32 s29, s3
.LBB61_27:                              ;   Parent Loop BB61_17 Depth=1
                                        ; =>  This Inner Loop Header: Depth=2
	ds_read_b32 v12, v14
	ds_read_b32 v13, v15
	s_add_i32 s29, s29, -1
	v_add_u32_e32 v15, 4, v15
	v_add_u32_e32 v14, 4, v14
	s_cmp_lg_u32 s29, 0
	s_waitcnt lgkmcnt(0)
	v_mad_u64_u32 v[12:13], s[38:39], v13, v12, v[0:1]
	v_mov_b32_e32 v13, v1
	v_mov_b64_e32 v[0:1], v[12:13]
	s_cbranch_scc1 .LBB61_27
; %bb.28:                               ;   in Loop: Header=BB61_17 Depth=1
	v_mov_b64_e32 v[0:1], v[12:13]
.LBB61_29:                              ;   in Loop: Header=BB61_17 Depth=1
	s_or_b64 exec, exec, s[12:13]
	s_and_saveexec_b64 s[12:13], s[6:7]
	s_cbranch_execz .LBB61_15
; %bb.30:                               ;   in Loop: Header=BB61_17 Depth=1
	v_mov_b32_e32 v12, v17
	s_mov_b32 s29, s3
	v_mov_b32_e32 v13, v18
.LBB61_31:                              ;   Parent Loop BB61_17 Depth=1
                                        ; =>  This Inner Loop Header: Depth=2
	ds_read_b32 v15, v12
	ds_read_b32 v21, v13
	v_mov_b32_e32 v14, v1
	s_add_i32 s29, s29, -1
	v_add_u32_e32 v13, 4, v13
	v_add_u32_e32 v12, 4, v12
	s_waitcnt lgkmcnt(0)
	v_mad_u64_u32 v[14:15], s[38:39], v21, v15, v[14:15]
	s_cmp_lg_u32 s29, 0
	v_mov_b32_e32 v1, v14
	s_cbranch_scc1 .LBB61_31
	s_branch .LBB61_15
.LBB61_32:
	v_mov_b32_e32 v0, 0
	v_mov_b32_e32 v1, v0
.LBB61_33:
	s_and_b64 s[4:5], s[18:19], vcc
	s_and_saveexec_b64 s[6:7], s[4:5]
	s_cbranch_execz .LBB61_53
; %bb.34:
	s_mul_i32 s2, s3, s2
	v_add_u32_e32 v6, s2, v6
	s_load_dwordx2 s[2:3], s[0:1], 0x70
	v_ashrrev_i32_e32 v7, 31, v6
	s_cmp_lg_u32 s36, 0
	s_cselect_b64 s[0:1], -1, 0
	s_cmp_lg_u32 s16, 1
	s_waitcnt lgkmcnt(0)
	v_mul_lo_u32 v3, s2, v7
	v_mul_lo_u32 v5, s3, v6
	v_mad_u64_u32 v[8:9], s[6:7], s2, v6, 0
	v_add3_u32 v9, v9, v3, v5
	s_cselect_b64 s[4:5], -1, 0
	v_lshl_add_u64 v[8:9], v[8:9], 2, s[30:31]
	v_lshl_add_u64 v[6:7], v[6:7], 2, s[30:31]
	v_cmp_gt_i32_e32 vcc, s15, v4
	s_and_saveexec_b64 s[6:7], vcc
	s_cbranch_execz .LBB61_46
; %bb.35:
	s_and_b64 vcc, exec, s[0:1]
	v_ashrrev_i32_e32 v5, 31, v4
	s_mov_b64 s[8:9], -1
	s_cbranch_vccz .LBB61_41
; %bb.36:
	s_and_b64 vcc, exec, s[4:5]
	s_cbranch_vccz .LBB61_38
; %bb.37:
	v_lshl_add_u64 v[10:11], v[4:5], 2, v[8:9]
	global_load_dword v3, v[10:11], off
	v_mul_lo_u32 v12, v0, s33
	s_waitcnt vmcnt(0)
	v_mad_u64_u32 v[12:13], s[8:9], v3, s36, v[12:13]
	global_store_dword v[10:11], v12, off
	s_mov_b64 s[8:9], 0
.LBB61_38:
	s_andn2_b64 vcc, exec, s[8:9]
	s_cbranch_vccnz .LBB61_40
; %bb.39:
	v_mul_lo_u32 v3, s3, v4
	v_mul_lo_u32 v12, s2, v5
	v_mad_u64_u32 v[10:11], s[8:9], s2, v4, 0
	v_add3_u32 v11, v11, v12, v3
	v_lshl_add_u64 v[10:11], v[10:11], 2, v[6:7]
	global_load_dword v3, v[10:11], off
	v_mul_lo_u32 v12, v0, s33
	s_waitcnt vmcnt(0)
	v_mad_u64_u32 v[12:13], s[8:9], v3, s36, v[12:13]
	global_store_dword v[10:11], v12, off
.LBB61_40:
	s_mov_b64 s[8:9], 0
.LBB61_41:
	s_andn2_b64 vcc, exec, s[8:9]
	s_cbranch_vccnz .LBB61_46
; %bb.42:
	v_mul_lo_u32 v0, v0, s33
	s_mov_b64 s[8:9], -1
	s_and_b64 vcc, exec, s[4:5]
	s_cbranch_vccz .LBB61_44
; %bb.43:
	v_lshl_add_u64 v[10:11], v[4:5], 2, v[8:9]
	global_store_dword v[10:11], v0, off
	s_mov_b64 s[8:9], 0
.LBB61_44:
	s_andn2_b64 vcc, exec, s[8:9]
	s_cbranch_vccnz .LBB61_46
; %bb.45:
	v_mul_lo_u32 v3, s3, v4
	v_mul_lo_u32 v10, s2, v5
	v_mad_u64_u32 v[4:5], s[8:9], s2, v4, 0
	v_add3_u32 v5, v5, v10, v3
	v_lshl_add_u64 v[4:5], v[4:5], 2, v[6:7]
	global_store_dword v[4:5], v0, off
.LBB61_46:
	s_or_b64 exec, exec, s[6:7]
	v_cmp_gt_i32_e32 vcc, s15, v2
	s_and_b64 exec, exec, vcc
	s_cbranch_execz .LBB61_53
; %bb.47:
	v_cndmask_b32_e64 v0, 0, 1, s[4:5]
	s_andn2_b64 vcc, exec, s[0:1]
	v_ashrrev_i32_e32 v3, 31, v2
	v_cmp_ne_u32_e64 s[0:1], 1, v0
	s_cbranch_vccnz .LBB61_54
; %bb.48:
	s_and_b64 vcc, exec, s[0:1]
	s_mov_b64 s[4:5], -1
	s_cbranch_vccnz .LBB61_50
; %bb.49:
	v_lshl_add_u64 v[4:5], v[2:3], 2, v[8:9]
	global_load_dword v10, v[4:5], off
	v_mul_lo_u32 v0, v1, s33
	s_waitcnt vmcnt(0)
	v_mad_u64_u32 v[10:11], s[4:5], v10, s36, v[0:1]
	s_mov_b64 s[4:5], 0
	global_store_dword v[4:5], v10, off
.LBB61_50:
	s_andn2_b64 vcc, exec, s[4:5]
	s_cbranch_vccnz .LBB61_52
; %bb.51:
	v_mul_lo_u32 v0, s3, v2
	v_mul_lo_u32 v10, s2, v3
	v_mad_u64_u32 v[4:5], s[4:5], s2, v2, 0
	v_add3_u32 v5, v5, v10, v0
	v_lshl_add_u64 v[4:5], v[4:5], 2, v[6:7]
	global_load_dword v10, v[4:5], off
	v_mul_lo_u32 v0, v1, s33
	s_waitcnt vmcnt(0)
	v_mad_u64_u32 v[10:11], s[4:5], v10, s36, v[0:1]
	global_store_dword v[4:5], v10, off
.LBB61_52:
	s_cbranch_execz .LBB61_55
.LBB61_53:
	s_endpgm
.LBB61_54:
.LBB61_55:
	v_mul_lo_u32 v0, v1, s33
	s_and_b64 vcc, exec, s[0:1]
	s_mov_b64 s[0:1], -1
	s_cbranch_vccnz .LBB61_57
; %bb.56:
	v_lshl_add_u64 v[4:5], v[2:3], 2, v[8:9]
	s_mov_b64 s[0:1], 0
	global_store_dword v[4:5], v0, off
.LBB61_57:
	s_andn2_b64 vcc, exec, s[0:1]
	s_cbranch_vccnz .LBB61_53
; %bb.58:
	v_mul_lo_u32 v1, s3, v2
	v_mul_lo_u32 v4, s2, v3
	v_mad_u64_u32 v[2:3], s[0:1], s2, v2, 0
	v_add3_u32 v3, v3, v4, v1
	v_lshl_add_u64 v[2:3], v[2:3], 2, v[6:7]
	global_store_dword v[2:3], v0, off
	s_endpgm
	.section	.rodata,"a",@progbits
	.p2align	6, 0x0
	.amdhsa_kernel _ZN9rocsparseL31bsrmm_large_blockdim_kernel_extILj4ELj16ELj2EiiaaiiEEvb20rocsparse_direction_T3_S2_llNS_24const_host_device_scalarIT7_EEPKT2_PKS2_PKT4_S2_PKT5_llS5_PT6_ll16rocsparse_order_21rocsparse_index_base_b
		.amdhsa_group_segment_fixed_size 576
		.amdhsa_private_segment_fixed_size 0
		.amdhsa_kernarg_size 140
		.amdhsa_user_sgpr_count 2
		.amdhsa_user_sgpr_dispatch_ptr 0
		.amdhsa_user_sgpr_queue_ptr 0
		.amdhsa_user_sgpr_kernarg_segment_ptr 1
		.amdhsa_user_sgpr_dispatch_id 0
		.amdhsa_user_sgpr_kernarg_preload_length 0
		.amdhsa_user_sgpr_kernarg_preload_offset 0
		.amdhsa_user_sgpr_private_segment_size 0
		.amdhsa_uses_dynamic_stack 0
		.amdhsa_enable_private_segment 0
		.amdhsa_system_sgpr_workgroup_id_x 1
		.amdhsa_system_sgpr_workgroup_id_y 1
		.amdhsa_system_sgpr_workgroup_id_z 0
		.amdhsa_system_sgpr_workgroup_info 0
		.amdhsa_system_vgpr_workitem_id 1
		.amdhsa_next_free_vgpr 26
		.amdhsa_next_free_sgpr 40
		.amdhsa_accum_offset 28
		.amdhsa_reserve_vcc 1
		.amdhsa_float_round_mode_32 0
		.amdhsa_float_round_mode_16_64 0
		.amdhsa_float_denorm_mode_32 3
		.amdhsa_float_denorm_mode_16_64 3
		.amdhsa_dx10_clamp 1
		.amdhsa_ieee_mode 1
		.amdhsa_fp16_overflow 0
		.amdhsa_tg_split 0
		.amdhsa_exception_fp_ieee_invalid_op 0
		.amdhsa_exception_fp_denorm_src 0
		.amdhsa_exception_fp_ieee_div_zero 0
		.amdhsa_exception_fp_ieee_overflow 0
		.amdhsa_exception_fp_ieee_underflow 0
		.amdhsa_exception_fp_ieee_inexact 0
		.amdhsa_exception_int_div_zero 0
	.end_amdhsa_kernel
	.section	.text._ZN9rocsparseL31bsrmm_large_blockdim_kernel_extILj4ELj16ELj2EiiaaiiEEvb20rocsparse_direction_T3_S2_llNS_24const_host_device_scalarIT7_EEPKT2_PKS2_PKT4_S2_PKT5_llS5_PT6_ll16rocsparse_order_21rocsparse_index_base_b,"axG",@progbits,_ZN9rocsparseL31bsrmm_large_blockdim_kernel_extILj4ELj16ELj2EiiaaiiEEvb20rocsparse_direction_T3_S2_llNS_24const_host_device_scalarIT7_EEPKT2_PKS2_PKT4_S2_PKT5_llS5_PT6_ll16rocsparse_order_21rocsparse_index_base_b,comdat
.Lfunc_end61:
	.size	_ZN9rocsparseL31bsrmm_large_blockdim_kernel_extILj4ELj16ELj2EiiaaiiEEvb20rocsparse_direction_T3_S2_llNS_24const_host_device_scalarIT7_EEPKT2_PKS2_PKT4_S2_PKT5_llS5_PT6_ll16rocsparse_order_21rocsparse_index_base_b, .Lfunc_end61-_ZN9rocsparseL31bsrmm_large_blockdim_kernel_extILj4ELj16ELj2EiiaaiiEEvb20rocsparse_direction_T3_S2_llNS_24const_host_device_scalarIT7_EEPKT2_PKS2_PKT4_S2_PKT5_llS5_PT6_ll16rocsparse_order_21rocsparse_index_base_b
                                        ; -- End function
	.set _ZN9rocsparseL31bsrmm_large_blockdim_kernel_extILj4ELj16ELj2EiiaaiiEEvb20rocsparse_direction_T3_S2_llNS_24const_host_device_scalarIT7_EEPKT2_PKS2_PKT4_S2_PKT5_llS5_PT6_ll16rocsparse_order_21rocsparse_index_base_b.num_vgpr, 26
	.set _ZN9rocsparseL31bsrmm_large_blockdim_kernel_extILj4ELj16ELj2EiiaaiiEEvb20rocsparse_direction_T3_S2_llNS_24const_host_device_scalarIT7_EEPKT2_PKS2_PKT4_S2_PKT5_llS5_PT6_ll16rocsparse_order_21rocsparse_index_base_b.num_agpr, 0
	.set _ZN9rocsparseL31bsrmm_large_blockdim_kernel_extILj4ELj16ELj2EiiaaiiEEvb20rocsparse_direction_T3_S2_llNS_24const_host_device_scalarIT7_EEPKT2_PKS2_PKT4_S2_PKT5_llS5_PT6_ll16rocsparse_order_21rocsparse_index_base_b.numbered_sgpr, 40
	.set _ZN9rocsparseL31bsrmm_large_blockdim_kernel_extILj4ELj16ELj2EiiaaiiEEvb20rocsparse_direction_T3_S2_llNS_24const_host_device_scalarIT7_EEPKT2_PKS2_PKT4_S2_PKT5_llS5_PT6_ll16rocsparse_order_21rocsparse_index_base_b.num_named_barrier, 0
	.set _ZN9rocsparseL31bsrmm_large_blockdim_kernel_extILj4ELj16ELj2EiiaaiiEEvb20rocsparse_direction_T3_S2_llNS_24const_host_device_scalarIT7_EEPKT2_PKS2_PKT4_S2_PKT5_llS5_PT6_ll16rocsparse_order_21rocsparse_index_base_b.private_seg_size, 0
	.set _ZN9rocsparseL31bsrmm_large_blockdim_kernel_extILj4ELj16ELj2EiiaaiiEEvb20rocsparse_direction_T3_S2_llNS_24const_host_device_scalarIT7_EEPKT2_PKS2_PKT4_S2_PKT5_llS5_PT6_ll16rocsparse_order_21rocsparse_index_base_b.uses_vcc, 1
	.set _ZN9rocsparseL31bsrmm_large_blockdim_kernel_extILj4ELj16ELj2EiiaaiiEEvb20rocsparse_direction_T3_S2_llNS_24const_host_device_scalarIT7_EEPKT2_PKS2_PKT4_S2_PKT5_llS5_PT6_ll16rocsparse_order_21rocsparse_index_base_b.uses_flat_scratch, 0
	.set _ZN9rocsparseL31bsrmm_large_blockdim_kernel_extILj4ELj16ELj2EiiaaiiEEvb20rocsparse_direction_T3_S2_llNS_24const_host_device_scalarIT7_EEPKT2_PKS2_PKT4_S2_PKT5_llS5_PT6_ll16rocsparse_order_21rocsparse_index_base_b.has_dyn_sized_stack, 0
	.set _ZN9rocsparseL31bsrmm_large_blockdim_kernel_extILj4ELj16ELj2EiiaaiiEEvb20rocsparse_direction_T3_S2_llNS_24const_host_device_scalarIT7_EEPKT2_PKS2_PKT4_S2_PKT5_llS5_PT6_ll16rocsparse_order_21rocsparse_index_base_b.has_recursion, 0
	.set _ZN9rocsparseL31bsrmm_large_blockdim_kernel_extILj4ELj16ELj2EiiaaiiEEvb20rocsparse_direction_T3_S2_llNS_24const_host_device_scalarIT7_EEPKT2_PKS2_PKT4_S2_PKT5_llS5_PT6_ll16rocsparse_order_21rocsparse_index_base_b.has_indirect_call, 0
	.section	.AMDGPU.csdata,"",@progbits
; Kernel info:
; codeLenInByte = 1724
; TotalNumSgprs: 46
; NumVgprs: 26
; NumAgprs: 0
; TotalNumVgprs: 26
; ScratchSize: 0
; MemoryBound: 0
; FloatMode: 240
; IeeeMode: 1
; LDSByteSize: 576 bytes/workgroup (compile time only)
; SGPRBlocks: 5
; VGPRBlocks: 3
; NumSGPRsForWavesPerEU: 46
; NumVGPRsForWavesPerEU: 26
; AccumOffset: 28
; Occupancy: 8
; WaveLimiterHint : 1
; COMPUTE_PGM_RSRC2:SCRATCH_EN: 0
; COMPUTE_PGM_RSRC2:USER_SGPR: 2
; COMPUTE_PGM_RSRC2:TRAP_HANDLER: 0
; COMPUTE_PGM_RSRC2:TGID_X_EN: 1
; COMPUTE_PGM_RSRC2:TGID_Y_EN: 1
; COMPUTE_PGM_RSRC2:TGID_Z_EN: 0
; COMPUTE_PGM_RSRC2:TIDIG_COMP_CNT: 1
; COMPUTE_PGM_RSRC3_GFX90A:ACCUM_OFFSET: 6
; COMPUTE_PGM_RSRC3_GFX90A:TG_SPLIT: 0
	.section	.text._ZN9rocsparseL31bsrmm_large_blockdim_kernel_extILj16ELj16ELj2EiiaaiiEEvb20rocsparse_direction_T3_S2_llNS_24const_host_device_scalarIT7_EEPKT2_PKS2_PKT4_S2_PKT5_llS5_PT6_ll16rocsparse_order_21rocsparse_index_base_b,"axG",@progbits,_ZN9rocsparseL31bsrmm_large_blockdim_kernel_extILj16ELj16ELj2EiiaaiiEEvb20rocsparse_direction_T3_S2_llNS_24const_host_device_scalarIT7_EEPKT2_PKS2_PKT4_S2_PKT5_llS5_PT6_ll16rocsparse_order_21rocsparse_index_base_b,comdat
	.globl	_ZN9rocsparseL31bsrmm_large_blockdim_kernel_extILj16ELj16ELj2EiiaaiiEEvb20rocsparse_direction_T3_S2_llNS_24const_host_device_scalarIT7_EEPKT2_PKS2_PKT4_S2_PKT5_llS5_PT6_ll16rocsparse_order_21rocsparse_index_base_b ; -- Begin function _ZN9rocsparseL31bsrmm_large_blockdim_kernel_extILj16ELj16ELj2EiiaaiiEEvb20rocsparse_direction_T3_S2_llNS_24const_host_device_scalarIT7_EEPKT2_PKS2_PKT4_S2_PKT5_llS5_PT6_ll16rocsparse_order_21rocsparse_index_base_b
	.p2align	8
	.type	_ZN9rocsparseL31bsrmm_large_blockdim_kernel_extILj16ELj16ELj2EiiaaiiEEvb20rocsparse_direction_T3_S2_llNS_24const_host_device_scalarIT7_EEPKT2_PKS2_PKT4_S2_PKT5_llS5_PT6_ll16rocsparse_order_21rocsparse_index_base_b,@function
_ZN9rocsparseL31bsrmm_large_blockdim_kernel_extILj16ELj16ELj2EiiaaiiEEvb20rocsparse_direction_T3_S2_llNS_24const_host_device_scalarIT7_EEPKT2_PKS2_PKT4_S2_PKT5_llS5_PT6_ll16rocsparse_order_21rocsparse_index_base_b: ; @_ZN9rocsparseL31bsrmm_large_blockdim_kernel_extILj16ELj16ELj2EiiaaiiEEvb20rocsparse_direction_T3_S2_llNS_24const_host_device_scalarIT7_EEPKT2_PKS2_PKT4_S2_PKT5_llS5_PT6_ll16rocsparse_order_21rocsparse_index_base_b
; %bb.0:
	s_load_dwordx4 s[16:19], s[0:1], 0x80
	s_load_dwordx2 s[10:11], s[0:1], 0x20
	s_mov_b32 s4, s3
	s_mov_b64 s[12:13], -1
                                        ; implicit-def: $sgpr33
	s_waitcnt lgkmcnt(0)
	s_bitcmp1_b32 s18, 0
	s_cselect_b64 s[6:7], -1, 0
	s_xor_b64 s[8:9], s[6:7], -1
	s_and_b64 vcc, exec, s[8:9]
	s_cbranch_vccnz .LBB62_4
; %bb.1:
	s_load_dwordx2 s[6:7], s[0:1], 0x60
	s_andn2_b64 vcc, exec, s[12:13]
	s_cbranch_vccz .LBB62_5
.LBB62_2:
	s_and_b64 vcc, exec, s[8:9]
	s_cbranch_vccz .LBB62_6
.LBB62_3:
	s_waitcnt lgkmcnt(0)
	s_load_dword s36, s[6:7], 0x0
	s_cbranch_execz .LBB62_7
	s_branch .LBB62_8
.LBB62_4:
	s_load_dword s33, s[10:11], 0x0
	s_load_dwordx2 s[6:7], s[0:1], 0x60
	s_cbranch_execnz .LBB62_2
.LBB62_5:
	s_waitcnt lgkmcnt(0)
	s_mov_b32 s33, s10
	s_and_b64 vcc, exec, s[8:9]
	s_cbranch_vccnz .LBB62_3
.LBB62_6:
                                        ; implicit-def: $sgpr36
.LBB62_7:
	s_waitcnt lgkmcnt(0)
	s_mov_b32 s36, s6
.LBB62_8:
	s_waitcnt lgkmcnt(0)
	s_cmp_eq_u32 s33, 0
	s_cselect_b64 s[6:7], -1, 0
	s_cmp_eq_u32 s36, 1
	s_cselect_b64 s[8:9], -1, 0
	s_and_b64 s[6:7], s[6:7], s[8:9]
	s_mov_b32 s28, 0
	s_and_b64 vcc, exec, s[6:7]
	s_cbranch_vccnz .LBB62_53
; %bb.9:
	s_load_dwordx4 s[12:15], s[0:1], 0x0
	s_load_dwordx2 s[6:7], s[0:1], 0x28
	s_waitcnt lgkmcnt(0)
	s_cmp_lt_i32 s2, s14
	s_cselect_b64 s[18:19], -1, 0
	s_cmp_ge_i32 s2, s14
	s_cbranch_scc1 .LBB62_11
; %bb.10:
	s_ashr_i32 s3, s2, 31
	s_lshl_b64 s[8:9], s[2:3], 2
	s_add_u32 s8, s6, s8
	s_addc_u32 s9, s7, s9
	s_load_dword s3, s[8:9], 0x0
	s_waitcnt lgkmcnt(0)
	s_sub_i32 s28, s3, s17
.LBB62_11:
	s_andn2_b64 vcc, exec, s[18:19]
	s_mov_b32 s14, 0
	s_cbranch_vccnz .LBB62_13
; %bb.12:
	s_ashr_i32 s3, s2, 31
	s_lshl_b64 s[8:9], s[2:3], 2
	s_add_u32 s6, s6, s8
	s_addc_u32 s7, s7, s9
	s_load_dword s3, s[6:7], 0x4
	s_waitcnt lgkmcnt(0)
	s_sub_i32 s14, s3, s17
.LBB62_13:
	s_load_dwordx2 s[30:31], s[0:1], 0x68
	s_load_dword s3, s[0:1], 0x40
	v_bfe_u32 v8, v0, 10, 10
	v_lshl_add_u32 v4, s4, 5, v8
	v_add_u32_e32 v2, 16, v4
	v_and_b32_e32 v6, 0x3ff, v0
	s_waitcnt lgkmcnt(0)
	v_cmp_gt_i32_e32 vcc, s3, v6
	s_cmp_ge_i32 s28, s14
	v_cmp_gt_i32_e64 s[4:5], s15, v4
	v_cmp_gt_i32_e64 s[6:7], s15, v2
	s_cbranch_scc1 .LBB62_32
; %bb.14:
	s_load_dwordx4 s[20:23], s[0:1], 0x30
	s_load_dwordx4 s[24:27], s[0:1], 0x48
	v_cmp_gt_i32_e64 s[8:9], s3, v8
	s_and_b64 s[34:35], vcc, s[8:9]
	v_mov_b32_e32 v0, 0x800
	v_lshlrev_b32_e32 v7, 6, v8
	s_bitcmp1_b32 s12, 0
	v_lshl_add_u32 v14, v8, 2, v0
	v_mad_u64_u32 v[0:1], s[10:11], s3, v8, v[6:7]
	v_ashrrev_i32_e32 v5, 31, v4
	s_cselect_b64 s[8:9], -1, 0
	s_cmp_eq_u32 s13, 0
	v_mad_u64_u32 v[12:13], s[10:11], s3, v6, v[8:9]
	s_waitcnt lgkmcnt(0)
	v_mul_lo_u32 v1, s27, v4
	v_mul_lo_u32 v3, s26, v5
	v_mad_u64_u32 v[8:9], s[10:11], s26, v4, 0
	v_mad_u64_u32 v[10:11], s[10:11], s26, v2, 0
	v_add3_u32 v9, v9, v3, v1
	v_ashrrev_i32_e32 v3, 31, v2
	s_cselect_b64 s[10:11], -1, 0
	v_lshlrev_b32_e32 v15, 2, v6
	v_lshlrev_b32_e32 v20, 6, v6
	v_mul_lo_u32 v1, s27, v2
	v_mul_lo_u32 v13, s26, v3
	v_cndmask_b32_e64 v16, v0, v12, s[10:11]
	v_mov_b32_e32 v0, 0
	s_mul_i32 s37, s3, s3
	v_add3_u32 v11, v11, v13, v1
	v_add_u32_e32 v17, 0x800, v20
	v_add_u32_e32 v18, 0x400, v7
	v_mov_b32_e32 v1, v0
	v_add_u32_e32 v19, v15, v7
	v_add_u32_e32 v20, v14, v20
	s_branch .LBB62_17
.LBB62_15:                              ;   in Loop: Header=BB62_17 Depth=1
	s_or_b64 exec, exec, s[12:13]
.LBB62_16:                              ;   in Loop: Header=BB62_17 Depth=1
	s_or_b64 exec, exec, s[10:11]
	s_add_i32 s28, s28, 1
	s_cmp_ge_i32 s28, s14
	s_barrier
	s_cbranch_scc1 .LBB62_33
.LBB62_17:                              ; =>This Loop Header: Depth=1
                                        ;     Child Loop BB62_27 Depth 2
                                        ;     Child Loop BB62_31 Depth 2
	s_and_saveexec_b64 s[10:11], vcc
	s_cbranch_execz .LBB62_22
; %bb.18:                               ;   in Loop: Header=BB62_17 Depth=1
	s_ashr_i32 s29, s28, 31
	s_lshl_b64 s[12:13], s[28:29], 2
	s_add_u32 s12, s20, s12
	s_addc_u32 s13, s21, s13
	s_load_dword s12, s[12:13], 0x0
	v_mov_b64_e32 v[12:13], s[24:25]
	s_waitcnt lgkmcnt(0)
	s_sub_i32 s12, s12, s17
	s_mul_i32 s12, s12, s3
	v_add_u32_e32 v14, s12, v6
	v_ashrrev_i32_e32 v15, 31, v14
	v_mul_lo_u32 v21, s27, v14
	v_mad_u64_u32 v[12:13], s[12:13], s26, v14, v[12:13]
	v_mul_lo_u32 v22, s26, v15
	v_add3_u32 v13, v21, v13, v22
	v_lshl_add_u64 v[14:15], s[24:25], 0, v[14:15]
	s_and_saveexec_b64 s[12:13], s[4:5]
	s_cbranch_execz .LBB62_20
; %bb.19:                               ;   in Loop: Header=BB62_17 Depth=1
	v_lshl_add_u64 v[22:23], v[12:13], 0, v[4:5]
	v_lshl_add_u64 v[24:25], v[14:15], 0, v[8:9]
	v_cndmask_b32_e64 v23, v23, v25, s[8:9]
	v_cndmask_b32_e64 v22, v22, v24, s[8:9]
	global_load_sbyte v21, v[22:23], off
	s_waitcnt vmcnt(0)
	ds_write_b32 v19, v21
.LBB62_20:                              ;   in Loop: Header=BB62_17 Depth=1
	s_or_b64 exec, exec, s[12:13]
	s_and_b64 exec, exec, s[6:7]
	s_cbranch_execz .LBB62_22
; %bb.21:                               ;   in Loop: Header=BB62_17 Depth=1
	v_lshl_add_u64 v[14:15], v[14:15], 0, v[10:11]
	v_lshl_add_u64 v[12:13], v[12:13], 0, v[2:3]
	v_cndmask_b32_e64 v13, v13, v15, s[8:9]
	v_cndmask_b32_e64 v12, v12, v14, s[8:9]
	global_load_sbyte v12, v[12:13], off
	s_waitcnt vmcnt(0)
	ds_write_b32 v19, v12 offset:1024
.LBB62_22:                              ;   in Loop: Header=BB62_17 Depth=1
	s_or_b64 exec, exec, s[10:11]
	s_and_saveexec_b64 s[10:11], s[34:35]
	s_cbranch_execz .LBB62_24
; %bb.23:                               ;   in Loop: Header=BB62_17 Depth=1
	s_mul_i32 s12, s37, s28
	v_add_u32_e32 v12, s12, v16
	v_ashrrev_i32_e32 v13, 31, v12
	v_lshl_add_u64 v[12:13], s[22:23], 0, v[12:13]
	global_load_sbyte v12, v[12:13], off
	s_waitcnt vmcnt(0)
	ds_write_b32 v20, v12
.LBB62_24:                              ;   in Loop: Header=BB62_17 Depth=1
	s_or_b64 exec, exec, s[10:11]
	s_waitcnt lgkmcnt(0)
	s_barrier
	s_and_saveexec_b64 s[10:11], vcc
	s_cbranch_execz .LBB62_16
; %bb.25:                               ;   in Loop: Header=BB62_17 Depth=1
	s_and_saveexec_b64 s[12:13], s[4:5]
	s_cbranch_execz .LBB62_29
; %bb.26:                               ;   in Loop: Header=BB62_17 Depth=1
	v_mov_b32_e32 v14, v17
	v_mov_b32_e32 v15, v7
	s_mov_b32 s29, s3
.LBB62_27:                              ;   Parent Loop BB62_17 Depth=1
                                        ; =>  This Inner Loop Header: Depth=2
	ds_read_b32 v12, v14
	ds_read_b32 v13, v15
	s_add_i32 s29, s29, -1
	v_add_u32_e32 v15, 4, v15
	v_add_u32_e32 v14, 4, v14
	s_cmp_lg_u32 s29, 0
	s_waitcnt lgkmcnt(0)
	v_mad_u64_u32 v[12:13], s[38:39], v13, v12, v[0:1]
	v_mov_b32_e32 v13, v1
	v_mov_b64_e32 v[0:1], v[12:13]
	s_cbranch_scc1 .LBB62_27
; %bb.28:                               ;   in Loop: Header=BB62_17 Depth=1
	v_mov_b64_e32 v[0:1], v[12:13]
.LBB62_29:                              ;   in Loop: Header=BB62_17 Depth=1
	s_or_b64 exec, exec, s[12:13]
	s_and_saveexec_b64 s[12:13], s[6:7]
	s_cbranch_execz .LBB62_15
; %bb.30:                               ;   in Loop: Header=BB62_17 Depth=1
	v_mov_b32_e32 v12, v17
	s_mov_b32 s29, s3
	v_mov_b32_e32 v13, v18
.LBB62_31:                              ;   Parent Loop BB62_17 Depth=1
                                        ; =>  This Inner Loop Header: Depth=2
	ds_read_b32 v15, v12
	ds_read_b32 v21, v13
	v_mov_b32_e32 v14, v1
	s_add_i32 s29, s29, -1
	v_add_u32_e32 v13, 4, v13
	v_add_u32_e32 v12, 4, v12
	s_waitcnt lgkmcnt(0)
	v_mad_u64_u32 v[14:15], s[38:39], v21, v15, v[14:15]
	s_cmp_lg_u32 s29, 0
	v_mov_b32_e32 v1, v14
	s_cbranch_scc1 .LBB62_31
	s_branch .LBB62_15
.LBB62_32:
	v_mov_b32_e32 v0, 0
	v_mov_b32_e32 v1, v0
.LBB62_33:
	s_and_b64 s[4:5], s[18:19], vcc
	s_and_saveexec_b64 s[6:7], s[4:5]
	s_cbranch_execz .LBB62_53
; %bb.34:
	s_mul_i32 s2, s3, s2
	v_add_u32_e32 v6, s2, v6
	s_load_dwordx2 s[2:3], s[0:1], 0x70
	v_ashrrev_i32_e32 v7, 31, v6
	s_cmp_lg_u32 s36, 0
	s_cselect_b64 s[0:1], -1, 0
	s_cmp_lg_u32 s16, 1
	s_waitcnt lgkmcnt(0)
	v_mul_lo_u32 v3, s2, v7
	v_mul_lo_u32 v5, s3, v6
	v_mad_u64_u32 v[8:9], s[6:7], s2, v6, 0
	v_add3_u32 v9, v9, v3, v5
	s_cselect_b64 s[4:5], -1, 0
	v_lshl_add_u64 v[8:9], v[8:9], 2, s[30:31]
	v_lshl_add_u64 v[6:7], v[6:7], 2, s[30:31]
	v_cmp_gt_i32_e32 vcc, s15, v4
	s_and_saveexec_b64 s[6:7], vcc
	s_cbranch_execz .LBB62_46
; %bb.35:
	s_and_b64 vcc, exec, s[0:1]
	v_ashrrev_i32_e32 v5, 31, v4
	s_mov_b64 s[8:9], -1
	s_cbranch_vccz .LBB62_41
; %bb.36:
	s_and_b64 vcc, exec, s[4:5]
	s_cbranch_vccz .LBB62_38
; %bb.37:
	v_lshl_add_u64 v[10:11], v[4:5], 2, v[8:9]
	global_load_dword v3, v[10:11], off
	v_mul_lo_u32 v12, v0, s33
	s_waitcnt vmcnt(0)
	v_mad_u64_u32 v[12:13], s[8:9], v3, s36, v[12:13]
	global_store_dword v[10:11], v12, off
	s_mov_b64 s[8:9], 0
.LBB62_38:
	s_andn2_b64 vcc, exec, s[8:9]
	s_cbranch_vccnz .LBB62_40
; %bb.39:
	v_mul_lo_u32 v3, s3, v4
	v_mul_lo_u32 v12, s2, v5
	v_mad_u64_u32 v[10:11], s[8:9], s2, v4, 0
	v_add3_u32 v11, v11, v12, v3
	v_lshl_add_u64 v[10:11], v[10:11], 2, v[6:7]
	global_load_dword v3, v[10:11], off
	v_mul_lo_u32 v12, v0, s33
	s_waitcnt vmcnt(0)
	v_mad_u64_u32 v[12:13], s[8:9], v3, s36, v[12:13]
	global_store_dword v[10:11], v12, off
.LBB62_40:
	s_mov_b64 s[8:9], 0
.LBB62_41:
	s_andn2_b64 vcc, exec, s[8:9]
	s_cbranch_vccnz .LBB62_46
; %bb.42:
	v_mul_lo_u32 v0, v0, s33
	s_mov_b64 s[8:9], -1
	s_and_b64 vcc, exec, s[4:5]
	s_cbranch_vccz .LBB62_44
; %bb.43:
	v_lshl_add_u64 v[10:11], v[4:5], 2, v[8:9]
	global_store_dword v[10:11], v0, off
	s_mov_b64 s[8:9], 0
.LBB62_44:
	s_andn2_b64 vcc, exec, s[8:9]
	s_cbranch_vccnz .LBB62_46
; %bb.45:
	v_mul_lo_u32 v3, s3, v4
	v_mul_lo_u32 v10, s2, v5
	v_mad_u64_u32 v[4:5], s[8:9], s2, v4, 0
	v_add3_u32 v5, v5, v10, v3
	v_lshl_add_u64 v[4:5], v[4:5], 2, v[6:7]
	global_store_dword v[4:5], v0, off
.LBB62_46:
	s_or_b64 exec, exec, s[6:7]
	v_cmp_gt_i32_e32 vcc, s15, v2
	s_and_b64 exec, exec, vcc
	s_cbranch_execz .LBB62_53
; %bb.47:
	v_cndmask_b32_e64 v0, 0, 1, s[4:5]
	s_andn2_b64 vcc, exec, s[0:1]
	v_ashrrev_i32_e32 v3, 31, v2
	v_cmp_ne_u32_e64 s[0:1], 1, v0
	s_cbranch_vccnz .LBB62_54
; %bb.48:
	s_and_b64 vcc, exec, s[0:1]
	s_mov_b64 s[4:5], -1
	s_cbranch_vccnz .LBB62_50
; %bb.49:
	v_lshl_add_u64 v[4:5], v[2:3], 2, v[8:9]
	global_load_dword v10, v[4:5], off
	v_mul_lo_u32 v0, v1, s33
	s_waitcnt vmcnt(0)
	v_mad_u64_u32 v[10:11], s[4:5], v10, s36, v[0:1]
	s_mov_b64 s[4:5], 0
	global_store_dword v[4:5], v10, off
.LBB62_50:
	s_andn2_b64 vcc, exec, s[4:5]
	s_cbranch_vccnz .LBB62_52
; %bb.51:
	v_mul_lo_u32 v0, s3, v2
	v_mul_lo_u32 v10, s2, v3
	v_mad_u64_u32 v[4:5], s[4:5], s2, v2, 0
	v_add3_u32 v5, v5, v10, v0
	v_lshl_add_u64 v[4:5], v[4:5], 2, v[6:7]
	global_load_dword v10, v[4:5], off
	v_mul_lo_u32 v0, v1, s33
	s_waitcnt vmcnt(0)
	v_mad_u64_u32 v[10:11], s[4:5], v10, s36, v[0:1]
	global_store_dword v[4:5], v10, off
.LBB62_52:
	s_cbranch_execz .LBB62_55
.LBB62_53:
	s_endpgm
.LBB62_54:
.LBB62_55:
	v_mul_lo_u32 v0, v1, s33
	s_and_b64 vcc, exec, s[0:1]
	s_mov_b64 s[0:1], -1
	s_cbranch_vccnz .LBB62_57
; %bb.56:
	v_lshl_add_u64 v[4:5], v[2:3], 2, v[8:9]
	s_mov_b64 s[0:1], 0
	global_store_dword v[4:5], v0, off
.LBB62_57:
	s_andn2_b64 vcc, exec, s[0:1]
	s_cbranch_vccnz .LBB62_53
; %bb.58:
	v_mul_lo_u32 v1, s3, v2
	v_mul_lo_u32 v4, s2, v3
	v_mad_u64_u32 v[2:3], s[0:1], s2, v2, 0
	v_add3_u32 v3, v3, v4, v1
	v_lshl_add_u64 v[2:3], v[2:3], 2, v[6:7]
	global_store_dword v[2:3], v0, off
	s_endpgm
	.section	.rodata,"a",@progbits
	.p2align	6, 0x0
	.amdhsa_kernel _ZN9rocsparseL31bsrmm_large_blockdim_kernel_extILj16ELj16ELj2EiiaaiiEEvb20rocsparse_direction_T3_S2_llNS_24const_host_device_scalarIT7_EEPKT2_PKS2_PKT4_S2_PKT5_llS5_PT6_ll16rocsparse_order_21rocsparse_index_base_b
		.amdhsa_group_segment_fixed_size 3072
		.amdhsa_private_segment_fixed_size 0
		.amdhsa_kernarg_size 140
		.amdhsa_user_sgpr_count 2
		.amdhsa_user_sgpr_dispatch_ptr 0
		.amdhsa_user_sgpr_queue_ptr 0
		.amdhsa_user_sgpr_kernarg_segment_ptr 1
		.amdhsa_user_sgpr_dispatch_id 0
		.amdhsa_user_sgpr_kernarg_preload_length 0
		.amdhsa_user_sgpr_kernarg_preload_offset 0
		.amdhsa_user_sgpr_private_segment_size 0
		.amdhsa_uses_dynamic_stack 0
		.amdhsa_enable_private_segment 0
		.amdhsa_system_sgpr_workgroup_id_x 1
		.amdhsa_system_sgpr_workgroup_id_y 1
		.amdhsa_system_sgpr_workgroup_id_z 0
		.amdhsa_system_sgpr_workgroup_info 0
		.amdhsa_system_vgpr_workitem_id 1
		.amdhsa_next_free_vgpr 26
		.amdhsa_next_free_sgpr 40
		.amdhsa_accum_offset 28
		.amdhsa_reserve_vcc 1
		.amdhsa_float_round_mode_32 0
		.amdhsa_float_round_mode_16_64 0
		.amdhsa_float_denorm_mode_32 3
		.amdhsa_float_denorm_mode_16_64 3
		.amdhsa_dx10_clamp 1
		.amdhsa_ieee_mode 1
		.amdhsa_fp16_overflow 0
		.amdhsa_tg_split 0
		.amdhsa_exception_fp_ieee_invalid_op 0
		.amdhsa_exception_fp_denorm_src 0
		.amdhsa_exception_fp_ieee_div_zero 0
		.amdhsa_exception_fp_ieee_overflow 0
		.amdhsa_exception_fp_ieee_underflow 0
		.amdhsa_exception_fp_ieee_inexact 0
		.amdhsa_exception_int_div_zero 0
	.end_amdhsa_kernel
	.section	.text._ZN9rocsparseL31bsrmm_large_blockdim_kernel_extILj16ELj16ELj2EiiaaiiEEvb20rocsparse_direction_T3_S2_llNS_24const_host_device_scalarIT7_EEPKT2_PKS2_PKT4_S2_PKT5_llS5_PT6_ll16rocsparse_order_21rocsparse_index_base_b,"axG",@progbits,_ZN9rocsparseL31bsrmm_large_blockdim_kernel_extILj16ELj16ELj2EiiaaiiEEvb20rocsparse_direction_T3_S2_llNS_24const_host_device_scalarIT7_EEPKT2_PKS2_PKT4_S2_PKT5_llS5_PT6_ll16rocsparse_order_21rocsparse_index_base_b,comdat
.Lfunc_end62:
	.size	_ZN9rocsparseL31bsrmm_large_blockdim_kernel_extILj16ELj16ELj2EiiaaiiEEvb20rocsparse_direction_T3_S2_llNS_24const_host_device_scalarIT7_EEPKT2_PKS2_PKT4_S2_PKT5_llS5_PT6_ll16rocsparse_order_21rocsparse_index_base_b, .Lfunc_end62-_ZN9rocsparseL31bsrmm_large_blockdim_kernel_extILj16ELj16ELj2EiiaaiiEEvb20rocsparse_direction_T3_S2_llNS_24const_host_device_scalarIT7_EEPKT2_PKS2_PKT4_S2_PKT5_llS5_PT6_ll16rocsparse_order_21rocsparse_index_base_b
                                        ; -- End function
	.set _ZN9rocsparseL31bsrmm_large_blockdim_kernel_extILj16ELj16ELj2EiiaaiiEEvb20rocsparse_direction_T3_S2_llNS_24const_host_device_scalarIT7_EEPKT2_PKS2_PKT4_S2_PKT5_llS5_PT6_ll16rocsparse_order_21rocsparse_index_base_b.num_vgpr, 26
	.set _ZN9rocsparseL31bsrmm_large_blockdim_kernel_extILj16ELj16ELj2EiiaaiiEEvb20rocsparse_direction_T3_S2_llNS_24const_host_device_scalarIT7_EEPKT2_PKS2_PKT4_S2_PKT5_llS5_PT6_ll16rocsparse_order_21rocsparse_index_base_b.num_agpr, 0
	.set _ZN9rocsparseL31bsrmm_large_blockdim_kernel_extILj16ELj16ELj2EiiaaiiEEvb20rocsparse_direction_T3_S2_llNS_24const_host_device_scalarIT7_EEPKT2_PKS2_PKT4_S2_PKT5_llS5_PT6_ll16rocsparse_order_21rocsparse_index_base_b.numbered_sgpr, 40
	.set _ZN9rocsparseL31bsrmm_large_blockdim_kernel_extILj16ELj16ELj2EiiaaiiEEvb20rocsparse_direction_T3_S2_llNS_24const_host_device_scalarIT7_EEPKT2_PKS2_PKT4_S2_PKT5_llS5_PT6_ll16rocsparse_order_21rocsparse_index_base_b.num_named_barrier, 0
	.set _ZN9rocsparseL31bsrmm_large_blockdim_kernel_extILj16ELj16ELj2EiiaaiiEEvb20rocsparse_direction_T3_S2_llNS_24const_host_device_scalarIT7_EEPKT2_PKS2_PKT4_S2_PKT5_llS5_PT6_ll16rocsparse_order_21rocsparse_index_base_b.private_seg_size, 0
	.set _ZN9rocsparseL31bsrmm_large_blockdim_kernel_extILj16ELj16ELj2EiiaaiiEEvb20rocsparse_direction_T3_S2_llNS_24const_host_device_scalarIT7_EEPKT2_PKS2_PKT4_S2_PKT5_llS5_PT6_ll16rocsparse_order_21rocsparse_index_base_b.uses_vcc, 1
	.set _ZN9rocsparseL31bsrmm_large_blockdim_kernel_extILj16ELj16ELj2EiiaaiiEEvb20rocsparse_direction_T3_S2_llNS_24const_host_device_scalarIT7_EEPKT2_PKS2_PKT4_S2_PKT5_llS5_PT6_ll16rocsparse_order_21rocsparse_index_base_b.uses_flat_scratch, 0
	.set _ZN9rocsparseL31bsrmm_large_blockdim_kernel_extILj16ELj16ELj2EiiaaiiEEvb20rocsparse_direction_T3_S2_llNS_24const_host_device_scalarIT7_EEPKT2_PKS2_PKT4_S2_PKT5_llS5_PT6_ll16rocsparse_order_21rocsparse_index_base_b.has_dyn_sized_stack, 0
	.set _ZN9rocsparseL31bsrmm_large_blockdim_kernel_extILj16ELj16ELj2EiiaaiiEEvb20rocsparse_direction_T3_S2_llNS_24const_host_device_scalarIT7_EEPKT2_PKS2_PKT4_S2_PKT5_llS5_PT6_ll16rocsparse_order_21rocsparse_index_base_b.has_recursion, 0
	.set _ZN9rocsparseL31bsrmm_large_blockdim_kernel_extILj16ELj16ELj2EiiaaiiEEvb20rocsparse_direction_T3_S2_llNS_24const_host_device_scalarIT7_EEPKT2_PKS2_PKT4_S2_PKT5_llS5_PT6_ll16rocsparse_order_21rocsparse_index_base_b.has_indirect_call, 0
	.section	.AMDGPU.csdata,"",@progbits
; Kernel info:
; codeLenInByte = 1732
; TotalNumSgprs: 46
; NumVgprs: 26
; NumAgprs: 0
; TotalNumVgprs: 26
; ScratchSize: 0
; MemoryBound: 0
; FloatMode: 240
; IeeeMode: 1
; LDSByteSize: 3072 bytes/workgroup (compile time only)
; SGPRBlocks: 5
; VGPRBlocks: 3
; NumSGPRsForWavesPerEU: 46
; NumVGPRsForWavesPerEU: 26
; AccumOffset: 28
; Occupancy: 8
; WaveLimiterHint : 1
; COMPUTE_PGM_RSRC2:SCRATCH_EN: 0
; COMPUTE_PGM_RSRC2:USER_SGPR: 2
; COMPUTE_PGM_RSRC2:TRAP_HANDLER: 0
; COMPUTE_PGM_RSRC2:TGID_X_EN: 1
; COMPUTE_PGM_RSRC2:TGID_Y_EN: 1
; COMPUTE_PGM_RSRC2:TGID_Z_EN: 0
; COMPUTE_PGM_RSRC2:TIDIG_COMP_CNT: 1
; COMPUTE_PGM_RSRC3_GFX90A:ACCUM_OFFSET: 6
; COMPUTE_PGM_RSRC3_GFX90A:TG_SPLIT: 0
	.section	.text._ZN9rocsparseL31bsrmm_large_blockdim_kernel_extILj32ELj32ELj2EiiaaiiEEvb20rocsparse_direction_T3_S2_llNS_24const_host_device_scalarIT7_EEPKT2_PKS2_PKT4_S2_PKT5_llS5_PT6_ll16rocsparse_order_21rocsparse_index_base_b,"axG",@progbits,_ZN9rocsparseL31bsrmm_large_blockdim_kernel_extILj32ELj32ELj2EiiaaiiEEvb20rocsparse_direction_T3_S2_llNS_24const_host_device_scalarIT7_EEPKT2_PKS2_PKT4_S2_PKT5_llS5_PT6_ll16rocsparse_order_21rocsparse_index_base_b,comdat
	.globl	_ZN9rocsparseL31bsrmm_large_blockdim_kernel_extILj32ELj32ELj2EiiaaiiEEvb20rocsparse_direction_T3_S2_llNS_24const_host_device_scalarIT7_EEPKT2_PKS2_PKT4_S2_PKT5_llS5_PT6_ll16rocsparse_order_21rocsparse_index_base_b ; -- Begin function _ZN9rocsparseL31bsrmm_large_blockdim_kernel_extILj32ELj32ELj2EiiaaiiEEvb20rocsparse_direction_T3_S2_llNS_24const_host_device_scalarIT7_EEPKT2_PKS2_PKT4_S2_PKT5_llS5_PT6_ll16rocsparse_order_21rocsparse_index_base_b
	.p2align	8
	.type	_ZN9rocsparseL31bsrmm_large_blockdim_kernel_extILj32ELj32ELj2EiiaaiiEEvb20rocsparse_direction_T3_S2_llNS_24const_host_device_scalarIT7_EEPKT2_PKS2_PKT4_S2_PKT5_llS5_PT6_ll16rocsparse_order_21rocsparse_index_base_b,@function
_ZN9rocsparseL31bsrmm_large_blockdim_kernel_extILj32ELj32ELj2EiiaaiiEEvb20rocsparse_direction_T3_S2_llNS_24const_host_device_scalarIT7_EEPKT2_PKS2_PKT4_S2_PKT5_llS5_PT6_ll16rocsparse_order_21rocsparse_index_base_b: ; @_ZN9rocsparseL31bsrmm_large_blockdim_kernel_extILj32ELj32ELj2EiiaaiiEEvb20rocsparse_direction_T3_S2_llNS_24const_host_device_scalarIT7_EEPKT2_PKS2_PKT4_S2_PKT5_llS5_PT6_ll16rocsparse_order_21rocsparse_index_base_b
; %bb.0:
	s_load_dwordx4 s[16:19], s[0:1], 0x80
	s_load_dwordx2 s[10:11], s[0:1], 0x20
	s_mov_b32 s4, s3
	s_mov_b64 s[12:13], -1
                                        ; implicit-def: $sgpr33
	s_waitcnt lgkmcnt(0)
	s_bitcmp1_b32 s18, 0
	s_cselect_b64 s[6:7], -1, 0
	s_xor_b64 s[8:9], s[6:7], -1
	s_and_b64 vcc, exec, s[8:9]
	s_cbranch_vccnz .LBB63_4
; %bb.1:
	s_load_dwordx2 s[6:7], s[0:1], 0x60
	s_andn2_b64 vcc, exec, s[12:13]
	s_cbranch_vccz .LBB63_5
.LBB63_2:
	s_and_b64 vcc, exec, s[8:9]
	s_cbranch_vccz .LBB63_6
.LBB63_3:
	s_waitcnt lgkmcnt(0)
	s_load_dword s36, s[6:7], 0x0
	s_cbranch_execz .LBB63_7
	s_branch .LBB63_8
.LBB63_4:
	s_load_dword s33, s[10:11], 0x0
	s_load_dwordx2 s[6:7], s[0:1], 0x60
	s_cbranch_execnz .LBB63_2
.LBB63_5:
	s_waitcnt lgkmcnt(0)
	s_mov_b32 s33, s10
	s_and_b64 vcc, exec, s[8:9]
	s_cbranch_vccnz .LBB63_3
.LBB63_6:
                                        ; implicit-def: $sgpr36
.LBB63_7:
	s_waitcnt lgkmcnt(0)
	s_mov_b32 s36, s6
.LBB63_8:
	s_waitcnt lgkmcnt(0)
	s_cmp_eq_u32 s33, 0
	s_cselect_b64 s[6:7], -1, 0
	s_cmp_eq_u32 s36, 1
	s_cselect_b64 s[8:9], -1, 0
	s_and_b64 s[6:7], s[6:7], s[8:9]
	s_mov_b32 s28, 0
	s_and_b64 vcc, exec, s[6:7]
	s_cbranch_vccnz .LBB63_53
; %bb.9:
	s_load_dwordx4 s[12:15], s[0:1], 0x0
	s_load_dwordx2 s[6:7], s[0:1], 0x28
	s_waitcnt lgkmcnt(0)
	s_cmp_lt_i32 s2, s14
	s_cselect_b64 s[18:19], -1, 0
	s_cmp_ge_i32 s2, s14
	s_cbranch_scc1 .LBB63_11
; %bb.10:
	s_ashr_i32 s3, s2, 31
	s_lshl_b64 s[8:9], s[2:3], 2
	s_add_u32 s8, s6, s8
	s_addc_u32 s9, s7, s9
	s_load_dword s3, s[8:9], 0x0
	s_waitcnt lgkmcnt(0)
	s_sub_i32 s28, s3, s17
.LBB63_11:
	s_andn2_b64 vcc, exec, s[18:19]
	s_mov_b32 s14, 0
	s_cbranch_vccnz .LBB63_13
; %bb.12:
	s_ashr_i32 s3, s2, 31
	s_lshl_b64 s[8:9], s[2:3], 2
	s_add_u32 s6, s6, s8
	s_addc_u32 s7, s7, s9
	s_load_dword s3, s[6:7], 0x4
	s_waitcnt lgkmcnt(0)
	s_sub_i32 s14, s3, s17
.LBB63_13:
	s_load_dwordx2 s[30:31], s[0:1], 0x68
	s_load_dword s3, s[0:1], 0x40
	v_bfe_u32 v8, v0, 10, 10
	v_lshl_add_u32 v4, s4, 6, v8
	v_add_u32_e32 v2, 32, v4
	v_and_b32_e32 v6, 0x3ff, v0
	s_waitcnt lgkmcnt(0)
	v_cmp_gt_i32_e32 vcc, s3, v6
	s_cmp_ge_i32 s28, s14
	v_cmp_gt_i32_e64 s[4:5], s15, v4
	v_cmp_gt_i32_e64 s[6:7], s15, v2
	s_cbranch_scc1 .LBB63_32
; %bb.14:
	s_load_dwordx4 s[20:23], s[0:1], 0x30
	s_load_dwordx4 s[24:27], s[0:1], 0x48
	v_cmp_gt_i32_e64 s[8:9], s3, v8
	s_and_b64 s[34:35], vcc, s[8:9]
	v_mov_b32_e32 v0, 0x2000
	v_lshlrev_b32_e32 v7, 7, v8
	s_bitcmp1_b32 s12, 0
	v_lshl_or_b32 v14, v8, 2, v0
	v_mad_u64_u32 v[0:1], s[10:11], s3, v8, v[6:7]
	v_ashrrev_i32_e32 v5, 31, v4
	s_cselect_b64 s[8:9], -1, 0
	s_cmp_eq_u32 s13, 0
	v_mad_u64_u32 v[12:13], s[10:11], s3, v6, v[8:9]
	s_waitcnt lgkmcnt(0)
	v_mul_lo_u32 v1, s27, v4
	v_mul_lo_u32 v3, s26, v5
	v_mad_u64_u32 v[8:9], s[10:11], s26, v4, 0
	v_mad_u64_u32 v[10:11], s[10:11], s26, v2, 0
	v_add3_u32 v9, v9, v3, v1
	v_ashrrev_i32_e32 v3, 31, v2
	s_cselect_b64 s[10:11], -1, 0
	v_lshlrev_b32_e32 v15, 2, v6
	v_lshlrev_b32_e32 v20, 7, v6
	v_mul_lo_u32 v1, s27, v2
	v_mul_lo_u32 v13, s26, v3
	v_cndmask_b32_e64 v16, v0, v12, s[10:11]
	v_mov_b32_e32 v0, 0
	s_mul_i32 s37, s3, s3
	v_add3_u32 v11, v11, v13, v1
	v_add_u32_e32 v17, 0x2000, v20
	v_add_u32_e32 v18, 0x1000, v7
	v_mov_b32_e32 v1, v0
	v_add_u32_e32 v19, v15, v7
	v_add_u32_e32 v20, v14, v20
	s_branch .LBB63_17
.LBB63_15:                              ;   in Loop: Header=BB63_17 Depth=1
	s_or_b64 exec, exec, s[12:13]
.LBB63_16:                              ;   in Loop: Header=BB63_17 Depth=1
	s_or_b64 exec, exec, s[10:11]
	s_add_i32 s28, s28, 1
	s_cmp_ge_i32 s28, s14
	s_barrier
	s_cbranch_scc1 .LBB63_33
.LBB63_17:                              ; =>This Loop Header: Depth=1
                                        ;     Child Loop BB63_27 Depth 2
                                        ;     Child Loop BB63_31 Depth 2
	s_and_saveexec_b64 s[10:11], vcc
	s_cbranch_execz .LBB63_22
; %bb.18:                               ;   in Loop: Header=BB63_17 Depth=1
	s_ashr_i32 s29, s28, 31
	s_lshl_b64 s[12:13], s[28:29], 2
	s_add_u32 s12, s20, s12
	s_addc_u32 s13, s21, s13
	s_load_dword s12, s[12:13], 0x0
	v_mov_b64_e32 v[12:13], s[24:25]
	s_waitcnt lgkmcnt(0)
	s_sub_i32 s12, s12, s17
	s_mul_i32 s12, s12, s3
	v_add_u32_e32 v14, s12, v6
	v_ashrrev_i32_e32 v15, 31, v14
	v_mul_lo_u32 v21, s27, v14
	v_mad_u64_u32 v[12:13], s[12:13], s26, v14, v[12:13]
	v_mul_lo_u32 v22, s26, v15
	v_add3_u32 v13, v21, v13, v22
	v_lshl_add_u64 v[14:15], s[24:25], 0, v[14:15]
	s_and_saveexec_b64 s[12:13], s[4:5]
	s_cbranch_execz .LBB63_20
; %bb.19:                               ;   in Loop: Header=BB63_17 Depth=1
	v_lshl_add_u64 v[22:23], v[12:13], 0, v[4:5]
	v_lshl_add_u64 v[24:25], v[14:15], 0, v[8:9]
	v_cndmask_b32_e64 v23, v23, v25, s[8:9]
	v_cndmask_b32_e64 v22, v22, v24, s[8:9]
	global_load_sbyte v21, v[22:23], off
	s_waitcnt vmcnt(0)
	ds_write_b32 v19, v21
.LBB63_20:                              ;   in Loop: Header=BB63_17 Depth=1
	s_or_b64 exec, exec, s[12:13]
	s_and_b64 exec, exec, s[6:7]
	s_cbranch_execz .LBB63_22
; %bb.21:                               ;   in Loop: Header=BB63_17 Depth=1
	v_lshl_add_u64 v[14:15], v[14:15], 0, v[10:11]
	v_lshl_add_u64 v[12:13], v[12:13], 0, v[2:3]
	v_cndmask_b32_e64 v13, v13, v15, s[8:9]
	v_cndmask_b32_e64 v12, v12, v14, s[8:9]
	global_load_sbyte v12, v[12:13], off
	s_waitcnt vmcnt(0)
	ds_write_b32 v19, v12 offset:4096
.LBB63_22:                              ;   in Loop: Header=BB63_17 Depth=1
	s_or_b64 exec, exec, s[10:11]
	s_and_saveexec_b64 s[10:11], s[34:35]
	s_cbranch_execz .LBB63_24
; %bb.23:                               ;   in Loop: Header=BB63_17 Depth=1
	s_mul_i32 s12, s37, s28
	v_add_u32_e32 v12, s12, v16
	v_ashrrev_i32_e32 v13, 31, v12
	v_lshl_add_u64 v[12:13], s[22:23], 0, v[12:13]
	global_load_sbyte v12, v[12:13], off
	s_waitcnt vmcnt(0)
	ds_write_b32 v20, v12
.LBB63_24:                              ;   in Loop: Header=BB63_17 Depth=1
	s_or_b64 exec, exec, s[10:11]
	s_waitcnt lgkmcnt(0)
	s_barrier
	s_and_saveexec_b64 s[10:11], vcc
	s_cbranch_execz .LBB63_16
; %bb.25:                               ;   in Loop: Header=BB63_17 Depth=1
	s_and_saveexec_b64 s[12:13], s[4:5]
	s_cbranch_execz .LBB63_29
; %bb.26:                               ;   in Loop: Header=BB63_17 Depth=1
	v_mov_b32_e32 v14, v17
	v_mov_b32_e32 v15, v7
	s_mov_b32 s29, s3
.LBB63_27:                              ;   Parent Loop BB63_17 Depth=1
                                        ; =>  This Inner Loop Header: Depth=2
	ds_read_b32 v12, v14
	ds_read_b32 v13, v15
	s_add_i32 s29, s29, -1
	v_add_u32_e32 v15, 4, v15
	v_add_u32_e32 v14, 4, v14
	s_cmp_lg_u32 s29, 0
	s_waitcnt lgkmcnt(0)
	v_mad_u64_u32 v[12:13], s[38:39], v13, v12, v[0:1]
	v_mov_b32_e32 v13, v1
	v_mov_b64_e32 v[0:1], v[12:13]
	s_cbranch_scc1 .LBB63_27
; %bb.28:                               ;   in Loop: Header=BB63_17 Depth=1
	v_mov_b64_e32 v[0:1], v[12:13]
.LBB63_29:                              ;   in Loop: Header=BB63_17 Depth=1
	s_or_b64 exec, exec, s[12:13]
	s_and_saveexec_b64 s[12:13], s[6:7]
	s_cbranch_execz .LBB63_15
; %bb.30:                               ;   in Loop: Header=BB63_17 Depth=1
	v_mov_b32_e32 v12, v17
	s_mov_b32 s29, s3
	v_mov_b32_e32 v13, v18
.LBB63_31:                              ;   Parent Loop BB63_17 Depth=1
                                        ; =>  This Inner Loop Header: Depth=2
	ds_read_b32 v15, v12
	ds_read_b32 v21, v13
	v_mov_b32_e32 v14, v1
	s_add_i32 s29, s29, -1
	v_add_u32_e32 v13, 4, v13
	v_add_u32_e32 v12, 4, v12
	s_waitcnt lgkmcnt(0)
	v_mad_u64_u32 v[14:15], s[38:39], v21, v15, v[14:15]
	s_cmp_lg_u32 s29, 0
	v_mov_b32_e32 v1, v14
	s_cbranch_scc1 .LBB63_31
	s_branch .LBB63_15
.LBB63_32:
	v_mov_b32_e32 v0, 0
	v_mov_b32_e32 v1, v0
.LBB63_33:
	s_and_b64 s[4:5], s[18:19], vcc
	s_and_saveexec_b64 s[6:7], s[4:5]
	s_cbranch_execz .LBB63_53
; %bb.34:
	s_mul_i32 s2, s3, s2
	v_add_u32_e32 v6, s2, v6
	s_load_dwordx2 s[2:3], s[0:1], 0x70
	v_ashrrev_i32_e32 v7, 31, v6
	s_cmp_lg_u32 s36, 0
	s_cselect_b64 s[0:1], -1, 0
	s_cmp_lg_u32 s16, 1
	s_waitcnt lgkmcnt(0)
	v_mul_lo_u32 v3, s2, v7
	v_mul_lo_u32 v5, s3, v6
	v_mad_u64_u32 v[8:9], s[6:7], s2, v6, 0
	v_add3_u32 v9, v9, v3, v5
	s_cselect_b64 s[4:5], -1, 0
	v_lshl_add_u64 v[8:9], v[8:9], 2, s[30:31]
	v_lshl_add_u64 v[6:7], v[6:7], 2, s[30:31]
	v_cmp_gt_i32_e32 vcc, s15, v4
	s_and_saveexec_b64 s[6:7], vcc
	s_cbranch_execz .LBB63_46
; %bb.35:
	s_and_b64 vcc, exec, s[0:1]
	v_ashrrev_i32_e32 v5, 31, v4
	s_mov_b64 s[8:9], -1
	s_cbranch_vccz .LBB63_41
; %bb.36:
	s_and_b64 vcc, exec, s[4:5]
	s_cbranch_vccz .LBB63_38
; %bb.37:
	v_lshl_add_u64 v[10:11], v[4:5], 2, v[8:9]
	global_load_dword v3, v[10:11], off
	v_mul_lo_u32 v12, v0, s33
	s_waitcnt vmcnt(0)
	v_mad_u64_u32 v[12:13], s[8:9], v3, s36, v[12:13]
	global_store_dword v[10:11], v12, off
	s_mov_b64 s[8:9], 0
.LBB63_38:
	s_andn2_b64 vcc, exec, s[8:9]
	s_cbranch_vccnz .LBB63_40
; %bb.39:
	v_mul_lo_u32 v3, s3, v4
	v_mul_lo_u32 v12, s2, v5
	v_mad_u64_u32 v[10:11], s[8:9], s2, v4, 0
	v_add3_u32 v11, v11, v12, v3
	v_lshl_add_u64 v[10:11], v[10:11], 2, v[6:7]
	global_load_dword v3, v[10:11], off
	v_mul_lo_u32 v12, v0, s33
	s_waitcnt vmcnt(0)
	v_mad_u64_u32 v[12:13], s[8:9], v3, s36, v[12:13]
	global_store_dword v[10:11], v12, off
.LBB63_40:
	s_mov_b64 s[8:9], 0
.LBB63_41:
	s_andn2_b64 vcc, exec, s[8:9]
	s_cbranch_vccnz .LBB63_46
; %bb.42:
	v_mul_lo_u32 v0, v0, s33
	s_mov_b64 s[8:9], -1
	s_and_b64 vcc, exec, s[4:5]
	s_cbranch_vccz .LBB63_44
; %bb.43:
	v_lshl_add_u64 v[10:11], v[4:5], 2, v[8:9]
	global_store_dword v[10:11], v0, off
	s_mov_b64 s[8:9], 0
.LBB63_44:
	s_andn2_b64 vcc, exec, s[8:9]
	s_cbranch_vccnz .LBB63_46
; %bb.45:
	v_mul_lo_u32 v3, s3, v4
	v_mul_lo_u32 v10, s2, v5
	v_mad_u64_u32 v[4:5], s[8:9], s2, v4, 0
	v_add3_u32 v5, v5, v10, v3
	v_lshl_add_u64 v[4:5], v[4:5], 2, v[6:7]
	global_store_dword v[4:5], v0, off
.LBB63_46:
	s_or_b64 exec, exec, s[6:7]
	v_cmp_gt_i32_e32 vcc, s15, v2
	s_and_b64 exec, exec, vcc
	s_cbranch_execz .LBB63_53
; %bb.47:
	v_cndmask_b32_e64 v0, 0, 1, s[4:5]
	s_andn2_b64 vcc, exec, s[0:1]
	v_ashrrev_i32_e32 v3, 31, v2
	v_cmp_ne_u32_e64 s[0:1], 1, v0
	s_cbranch_vccnz .LBB63_54
; %bb.48:
	s_and_b64 vcc, exec, s[0:1]
	s_mov_b64 s[4:5], -1
	s_cbranch_vccnz .LBB63_50
; %bb.49:
	v_lshl_add_u64 v[4:5], v[2:3], 2, v[8:9]
	global_load_dword v10, v[4:5], off
	v_mul_lo_u32 v0, v1, s33
	s_waitcnt vmcnt(0)
	v_mad_u64_u32 v[10:11], s[4:5], v10, s36, v[0:1]
	s_mov_b64 s[4:5], 0
	global_store_dword v[4:5], v10, off
.LBB63_50:
	s_andn2_b64 vcc, exec, s[4:5]
	s_cbranch_vccnz .LBB63_52
; %bb.51:
	v_mul_lo_u32 v0, s3, v2
	v_mul_lo_u32 v10, s2, v3
	v_mad_u64_u32 v[4:5], s[4:5], s2, v2, 0
	v_add3_u32 v5, v5, v10, v0
	v_lshl_add_u64 v[4:5], v[4:5], 2, v[6:7]
	global_load_dword v10, v[4:5], off
	v_mul_lo_u32 v0, v1, s33
	s_waitcnt vmcnt(0)
	v_mad_u64_u32 v[10:11], s[4:5], v10, s36, v[0:1]
	global_store_dword v[4:5], v10, off
.LBB63_52:
	s_cbranch_execz .LBB63_55
.LBB63_53:
	s_endpgm
.LBB63_54:
.LBB63_55:
	v_mul_lo_u32 v0, v1, s33
	s_and_b64 vcc, exec, s[0:1]
	s_mov_b64 s[0:1], -1
	s_cbranch_vccnz .LBB63_57
; %bb.56:
	v_lshl_add_u64 v[4:5], v[2:3], 2, v[8:9]
	s_mov_b64 s[0:1], 0
	global_store_dword v[4:5], v0, off
.LBB63_57:
	s_andn2_b64 vcc, exec, s[0:1]
	s_cbranch_vccnz .LBB63_53
; %bb.58:
	v_mul_lo_u32 v1, s3, v2
	v_mul_lo_u32 v4, s2, v3
	v_mad_u64_u32 v[2:3], s[0:1], s2, v2, 0
	v_add3_u32 v3, v3, v4, v1
	v_lshl_add_u64 v[2:3], v[2:3], 2, v[6:7]
	global_store_dword v[2:3], v0, off
	s_endpgm
	.section	.rodata,"a",@progbits
	.p2align	6, 0x0
	.amdhsa_kernel _ZN9rocsparseL31bsrmm_large_blockdim_kernel_extILj32ELj32ELj2EiiaaiiEEvb20rocsparse_direction_T3_S2_llNS_24const_host_device_scalarIT7_EEPKT2_PKS2_PKT4_S2_PKT5_llS5_PT6_ll16rocsparse_order_21rocsparse_index_base_b
		.amdhsa_group_segment_fixed_size 12288
		.amdhsa_private_segment_fixed_size 0
		.amdhsa_kernarg_size 140
		.amdhsa_user_sgpr_count 2
		.amdhsa_user_sgpr_dispatch_ptr 0
		.amdhsa_user_sgpr_queue_ptr 0
		.amdhsa_user_sgpr_kernarg_segment_ptr 1
		.amdhsa_user_sgpr_dispatch_id 0
		.amdhsa_user_sgpr_kernarg_preload_length 0
		.amdhsa_user_sgpr_kernarg_preload_offset 0
		.amdhsa_user_sgpr_private_segment_size 0
		.amdhsa_uses_dynamic_stack 0
		.amdhsa_enable_private_segment 0
		.amdhsa_system_sgpr_workgroup_id_x 1
		.amdhsa_system_sgpr_workgroup_id_y 1
		.amdhsa_system_sgpr_workgroup_id_z 0
		.amdhsa_system_sgpr_workgroup_info 0
		.amdhsa_system_vgpr_workitem_id 1
		.amdhsa_next_free_vgpr 26
		.amdhsa_next_free_sgpr 40
		.amdhsa_accum_offset 28
		.amdhsa_reserve_vcc 1
		.amdhsa_float_round_mode_32 0
		.amdhsa_float_round_mode_16_64 0
		.amdhsa_float_denorm_mode_32 3
		.amdhsa_float_denorm_mode_16_64 3
		.amdhsa_dx10_clamp 1
		.amdhsa_ieee_mode 1
		.amdhsa_fp16_overflow 0
		.amdhsa_tg_split 0
		.amdhsa_exception_fp_ieee_invalid_op 0
		.amdhsa_exception_fp_denorm_src 0
		.amdhsa_exception_fp_ieee_div_zero 0
		.amdhsa_exception_fp_ieee_overflow 0
		.amdhsa_exception_fp_ieee_underflow 0
		.amdhsa_exception_fp_ieee_inexact 0
		.amdhsa_exception_int_div_zero 0
	.end_amdhsa_kernel
	.section	.text._ZN9rocsparseL31bsrmm_large_blockdim_kernel_extILj32ELj32ELj2EiiaaiiEEvb20rocsparse_direction_T3_S2_llNS_24const_host_device_scalarIT7_EEPKT2_PKS2_PKT4_S2_PKT5_llS5_PT6_ll16rocsparse_order_21rocsparse_index_base_b,"axG",@progbits,_ZN9rocsparseL31bsrmm_large_blockdim_kernel_extILj32ELj32ELj2EiiaaiiEEvb20rocsparse_direction_T3_S2_llNS_24const_host_device_scalarIT7_EEPKT2_PKS2_PKT4_S2_PKT5_llS5_PT6_ll16rocsparse_order_21rocsparse_index_base_b,comdat
.Lfunc_end63:
	.size	_ZN9rocsparseL31bsrmm_large_blockdim_kernel_extILj32ELj32ELj2EiiaaiiEEvb20rocsparse_direction_T3_S2_llNS_24const_host_device_scalarIT7_EEPKT2_PKS2_PKT4_S2_PKT5_llS5_PT6_ll16rocsparse_order_21rocsparse_index_base_b, .Lfunc_end63-_ZN9rocsparseL31bsrmm_large_blockdim_kernel_extILj32ELj32ELj2EiiaaiiEEvb20rocsparse_direction_T3_S2_llNS_24const_host_device_scalarIT7_EEPKT2_PKS2_PKT4_S2_PKT5_llS5_PT6_ll16rocsparse_order_21rocsparse_index_base_b
                                        ; -- End function
	.set _ZN9rocsparseL31bsrmm_large_blockdim_kernel_extILj32ELj32ELj2EiiaaiiEEvb20rocsparse_direction_T3_S2_llNS_24const_host_device_scalarIT7_EEPKT2_PKS2_PKT4_S2_PKT5_llS5_PT6_ll16rocsparse_order_21rocsparse_index_base_b.num_vgpr, 26
	.set _ZN9rocsparseL31bsrmm_large_blockdim_kernel_extILj32ELj32ELj2EiiaaiiEEvb20rocsparse_direction_T3_S2_llNS_24const_host_device_scalarIT7_EEPKT2_PKS2_PKT4_S2_PKT5_llS5_PT6_ll16rocsparse_order_21rocsparse_index_base_b.num_agpr, 0
	.set _ZN9rocsparseL31bsrmm_large_blockdim_kernel_extILj32ELj32ELj2EiiaaiiEEvb20rocsparse_direction_T3_S2_llNS_24const_host_device_scalarIT7_EEPKT2_PKS2_PKT4_S2_PKT5_llS5_PT6_ll16rocsparse_order_21rocsparse_index_base_b.numbered_sgpr, 40
	.set _ZN9rocsparseL31bsrmm_large_blockdim_kernel_extILj32ELj32ELj2EiiaaiiEEvb20rocsparse_direction_T3_S2_llNS_24const_host_device_scalarIT7_EEPKT2_PKS2_PKT4_S2_PKT5_llS5_PT6_ll16rocsparse_order_21rocsparse_index_base_b.num_named_barrier, 0
	.set _ZN9rocsparseL31bsrmm_large_blockdim_kernel_extILj32ELj32ELj2EiiaaiiEEvb20rocsparse_direction_T3_S2_llNS_24const_host_device_scalarIT7_EEPKT2_PKS2_PKT4_S2_PKT5_llS5_PT6_ll16rocsparse_order_21rocsparse_index_base_b.private_seg_size, 0
	.set _ZN9rocsparseL31bsrmm_large_blockdim_kernel_extILj32ELj32ELj2EiiaaiiEEvb20rocsparse_direction_T3_S2_llNS_24const_host_device_scalarIT7_EEPKT2_PKS2_PKT4_S2_PKT5_llS5_PT6_ll16rocsparse_order_21rocsparse_index_base_b.uses_vcc, 1
	.set _ZN9rocsparseL31bsrmm_large_blockdim_kernel_extILj32ELj32ELj2EiiaaiiEEvb20rocsparse_direction_T3_S2_llNS_24const_host_device_scalarIT7_EEPKT2_PKS2_PKT4_S2_PKT5_llS5_PT6_ll16rocsparse_order_21rocsparse_index_base_b.uses_flat_scratch, 0
	.set _ZN9rocsparseL31bsrmm_large_blockdim_kernel_extILj32ELj32ELj2EiiaaiiEEvb20rocsparse_direction_T3_S2_llNS_24const_host_device_scalarIT7_EEPKT2_PKS2_PKT4_S2_PKT5_llS5_PT6_ll16rocsparse_order_21rocsparse_index_base_b.has_dyn_sized_stack, 0
	.set _ZN9rocsparseL31bsrmm_large_blockdim_kernel_extILj32ELj32ELj2EiiaaiiEEvb20rocsparse_direction_T3_S2_llNS_24const_host_device_scalarIT7_EEPKT2_PKS2_PKT4_S2_PKT5_llS5_PT6_ll16rocsparse_order_21rocsparse_index_base_b.has_recursion, 0
	.set _ZN9rocsparseL31bsrmm_large_blockdim_kernel_extILj32ELj32ELj2EiiaaiiEEvb20rocsparse_direction_T3_S2_llNS_24const_host_device_scalarIT7_EEPKT2_PKS2_PKT4_S2_PKT5_llS5_PT6_ll16rocsparse_order_21rocsparse_index_base_b.has_indirect_call, 0
	.section	.AMDGPU.csdata,"",@progbits
; Kernel info:
; codeLenInByte = 1732
; TotalNumSgprs: 46
; NumVgprs: 26
; NumAgprs: 0
; TotalNumVgprs: 26
; ScratchSize: 0
; MemoryBound: 0
; FloatMode: 240
; IeeeMode: 1
; LDSByteSize: 12288 bytes/workgroup (compile time only)
; SGPRBlocks: 5
; VGPRBlocks: 3
; NumSGPRsForWavesPerEU: 46
; NumVGPRsForWavesPerEU: 26
; AccumOffset: 28
; Occupancy: 8
; WaveLimiterHint : 1
; COMPUTE_PGM_RSRC2:SCRATCH_EN: 0
; COMPUTE_PGM_RSRC2:USER_SGPR: 2
; COMPUTE_PGM_RSRC2:TRAP_HANDLER: 0
; COMPUTE_PGM_RSRC2:TGID_X_EN: 1
; COMPUTE_PGM_RSRC2:TGID_Y_EN: 1
; COMPUTE_PGM_RSRC2:TGID_Z_EN: 0
; COMPUTE_PGM_RSRC2:TIDIG_COMP_CNT: 1
; COMPUTE_PGM_RSRC3_GFX90A:ACCUM_OFFSET: 6
; COMPUTE_PGM_RSRC3_GFX90A:TG_SPLIT: 0
	.section	.text._ZN9rocsparseL31bsrmm_large_blockdim_kernel_extILj8ELj8ELj2EliaaiiEEvb20rocsparse_direction_T3_S2_llNS_24const_host_device_scalarIT7_EEPKT2_PKS2_PKT4_S2_PKT5_llS5_PT6_ll16rocsparse_order_21rocsparse_index_base_b,"axG",@progbits,_ZN9rocsparseL31bsrmm_large_blockdim_kernel_extILj8ELj8ELj2EliaaiiEEvb20rocsparse_direction_T3_S2_llNS_24const_host_device_scalarIT7_EEPKT2_PKS2_PKT4_S2_PKT5_llS5_PT6_ll16rocsparse_order_21rocsparse_index_base_b,comdat
	.globl	_ZN9rocsparseL31bsrmm_large_blockdim_kernel_extILj8ELj8ELj2EliaaiiEEvb20rocsparse_direction_T3_S2_llNS_24const_host_device_scalarIT7_EEPKT2_PKS2_PKT4_S2_PKT5_llS5_PT6_ll16rocsparse_order_21rocsparse_index_base_b ; -- Begin function _ZN9rocsparseL31bsrmm_large_blockdim_kernel_extILj8ELj8ELj2EliaaiiEEvb20rocsparse_direction_T3_S2_llNS_24const_host_device_scalarIT7_EEPKT2_PKS2_PKT4_S2_PKT5_llS5_PT6_ll16rocsparse_order_21rocsparse_index_base_b
	.p2align	8
	.type	_ZN9rocsparseL31bsrmm_large_blockdim_kernel_extILj8ELj8ELj2EliaaiiEEvb20rocsparse_direction_T3_S2_llNS_24const_host_device_scalarIT7_EEPKT2_PKS2_PKT4_S2_PKT5_llS5_PT6_ll16rocsparse_order_21rocsparse_index_base_b,@function
_ZN9rocsparseL31bsrmm_large_blockdim_kernel_extILj8ELj8ELj2EliaaiiEEvb20rocsparse_direction_T3_S2_llNS_24const_host_device_scalarIT7_EEPKT2_PKS2_PKT4_S2_PKT5_llS5_PT6_ll16rocsparse_order_21rocsparse_index_base_b: ; @_ZN9rocsparseL31bsrmm_large_blockdim_kernel_extILj8ELj8ELj2EliaaiiEEvb20rocsparse_direction_T3_S2_llNS_24const_host_device_scalarIT7_EEPKT2_PKS2_PKT4_S2_PKT5_llS5_PT6_ll16rocsparse_order_21rocsparse_index_base_b
; %bb.0:
	s_load_dwordx4 s[16:19], s[0:1], 0x80
	s_load_dwordx2 s[10:11], s[0:1], 0x20
	s_mov_b32 s4, s3
	s_mov_b64 s[12:13], -1
                                        ; implicit-def: $sgpr33
	s_waitcnt lgkmcnt(0)
	s_bitcmp1_b32 s18, 0
	s_cselect_b64 s[6:7], -1, 0
	s_xor_b64 s[8:9], s[6:7], -1
	s_and_b64 vcc, exec, s[8:9]
	s_cbranch_vccnz .LBB64_4
; %bb.1:
	s_load_dwordx2 s[6:7], s[0:1], 0x60
	s_andn2_b64 vcc, exec, s[12:13]
	s_cbranch_vccz .LBB64_5
.LBB64_2:
	s_and_b64 vcc, exec, s[8:9]
	s_cbranch_vccz .LBB64_6
.LBB64_3:
	s_waitcnt lgkmcnt(0)
	s_load_dword s38, s[6:7], 0x0
	s_cbranch_execz .LBB64_7
	s_branch .LBB64_8
.LBB64_4:
	s_load_dword s33, s[10:11], 0x0
	s_load_dwordx2 s[6:7], s[0:1], 0x60
	s_cbranch_execnz .LBB64_2
.LBB64_5:
	s_waitcnt lgkmcnt(0)
	s_mov_b32 s33, s10
	s_and_b64 vcc, exec, s[8:9]
	s_cbranch_vccnz .LBB64_3
.LBB64_6:
                                        ; implicit-def: $sgpr38
.LBB64_7:
	s_waitcnt lgkmcnt(0)
	s_mov_b32 s38, s6
.LBB64_8:
	s_waitcnt lgkmcnt(0)
	s_cmp_eq_u32 s33, 0
	s_cselect_b64 s[6:7], -1, 0
	s_cmp_eq_u32 s38, 1
	s_cselect_b64 s[8:9], -1, 0
	s_and_b64 s[6:7], s[6:7], s[8:9]
	s_and_b64 vcc, exec, s[6:7]
	s_cbranch_vccnz .LBB64_53
; %bb.9:
	s_load_dwordx4 s[12:15], s[0:1], 0x0
	s_load_dwordx2 s[6:7], s[0:1], 0x28
	s_mov_b64 s[30:31], 0
	s_mov_b64 s[34:35], 0
	s_waitcnt lgkmcnt(0)
	s_cmp_lt_i32 s2, s14
	s_cselect_b64 s[18:19], -1, 0
	s_cmp_ge_i32 s2, s14
	s_cbranch_scc1 .LBB64_11
; %bb.10:
	s_ashr_i32 s3, s2, 31
	s_lshl_b64 s[8:9], s[2:3], 3
	s_add_u32 s8, s6, s8
	s_addc_u32 s9, s7, s9
	s_load_dwordx2 s[8:9], s[8:9], 0x0
	s_waitcnt lgkmcnt(0)
	s_sub_u32 s34, s8, s17
	s_subb_u32 s35, s9, 0
.LBB64_11:
	s_andn2_b64 vcc, exec, s[18:19]
	s_cbranch_vccnz .LBB64_13
; %bb.12:
	s_ashr_i32 s3, s2, 31
	s_lshl_b64 s[8:9], s[2:3], 3
	s_add_u32 s6, s6, s8
	s_addc_u32 s7, s7, s9
	s_load_dwordx2 s[6:7], s[6:7], 0x8
	s_waitcnt lgkmcnt(0)
	s_sub_u32 s30, s6, s17
	s_subb_u32 s31, s7, 0
.LBB64_13:
	s_load_dwordx2 s[28:29], s[0:1], 0x68
	s_load_dword s3, s[0:1], 0x40
	v_bfe_u32 v8, v0, 10, 10
	v_lshl_add_u32 v4, s4, 4, v8
	v_and_b32_e32 v6, 0x3ff, v0
	v_mov_b64_e32 v[0:1], s[30:31]
	v_add_u32_e32 v2, 8, v4
	v_cmp_ge_i64_e32 vcc, s[34:35], v[0:1]
	s_waitcnt lgkmcnt(0)
	v_cmp_gt_i32_e64 s[4:5], s3, v6
	v_cmp_gt_i32_e64 s[6:7], s15, v4
	;; [unrolled: 1-line block ×3, first 2 shown]
	s_cbranch_vccnz .LBB64_32
; %bb.14:
	s_load_dwordx4 s[20:23], s[0:1], 0x30
	s_load_dwordx4 s[24:27], s[0:1], 0x48
	v_mov_b32_e32 v0, 0x200
	v_cmp_gt_i32_e32 vcc, s3, v8
	v_lshl_add_u32 v16, v8, 2, v0
	v_mul_lo_u32 v0, s3, v8
	v_mov_b32_e32 v1, 0
	s_and_b64 s[36:37], s[4:5], vcc
	v_mov_b32_e32 v7, v1
	s_waitcnt lgkmcnt(0)
	v_lshl_add_u64 v[10:11], s[22:23], 0, v[0:1]
	v_mul_lo_u32 v0, s3, v6
	s_bitcmp1_b32 s12, 0
	v_lshl_add_u64 v[12:13], v[10:11], 0, v[6:7]
	v_mov_b32_e32 v9, v1
	v_lshl_add_u64 v[10:11], s[22:23], 0, v[0:1]
	v_ashrrev_i32_e32 v5, 31, v4
	s_cselect_b64 s[10:11], -1, 0
	v_lshlrev_b32_e32 v18, 5, v8
	s_cmp_eq_u32 s13, 0
	v_lshl_add_u64 v[14:15], v[10:11], 0, v[8:9]
	v_mul_lo_u32 v0, s27, v4
	v_mul_lo_u32 v3, s26, v5
	v_mad_u64_u32 v[8:9], s[12:13], s26, v4, 0
	v_add3_u32 v9, v9, v3, v0
	v_ashrrev_i32_e32 v3, 31, v2
	v_lshlrev_b32_e32 v17, 2, v6
	v_lshlrev_b32_e32 v21, 5, v6
	v_mul_lo_u32 v0, s27, v2
	v_mul_lo_u32 v7, s26, v3
	v_mad_u64_u32 v[10:11], s[12:13], s26, v2, 0
	s_cselect_b64 vcc, -1, 0
	s_mul_i32 s14, s3, s3
	v_add3_u32 v11, v11, v7, v0
	v_cndmask_b32_e32 v13, v13, v15, vcc
	v_cndmask_b32_e32 v12, v12, v14, vcc
	v_add_u32_e32 v7, 0x200, v21
	v_add_u32_e32 v19, 0x100, v18
	v_mov_b32_e32 v0, v1
	v_add_u32_e32 v20, v17, v18
	v_add_u32_e32 v21, v16, v21
	s_branch .LBB64_17
.LBB64_15:                              ;   in Loop: Header=BB64_17 Depth=1
	s_or_b64 exec, exec, s[22:23]
.LBB64_16:                              ;   in Loop: Header=BB64_17 Depth=1
	s_or_b64 exec, exec, s[12:13]
	s_add_u32 s34, s34, 1
	s_addc_u32 s35, s35, 0
	v_mov_b64_e32 v[14:15], s[30:31]
	v_cmp_ge_i64_e32 vcc, s[34:35], v[14:15]
	; wave barrier
	s_cbranch_vccnz .LBB64_33
.LBB64_17:                              ; =>This Loop Header: Depth=1
                                        ;     Child Loop BB64_27 Depth 2
                                        ;     Child Loop BB64_31 Depth 2
	s_and_saveexec_b64 s[12:13], s[4:5]
	s_cbranch_execz .LBB64_22
; %bb.18:                               ;   in Loop: Header=BB64_17 Depth=1
	s_lshl_b64 s[22:23], s[34:35], 2
	s_add_u32 s22, s20, s22
	s_addc_u32 s23, s21, s23
	s_load_dword s22, s[22:23], 0x0
	v_mov_b64_e32 v[14:15], s[24:25]
	s_waitcnt lgkmcnt(0)
	s_sub_i32 s22, s22, s17
	s_mul_i32 s22, s22, s3
	v_add_u32_e32 v16, s22, v6
	v_ashrrev_i32_e32 v17, 31, v16
	v_mul_lo_u32 v22, s27, v16
	v_mad_u64_u32 v[14:15], s[22:23], s26, v16, v[14:15]
	v_mul_lo_u32 v23, s26, v17
	v_add3_u32 v15, v22, v15, v23
	v_lshl_add_u64 v[16:17], s[24:25], 0, v[16:17]
	s_and_saveexec_b64 s[22:23], s[6:7]
	s_cbranch_execz .LBB64_20
; %bb.19:                               ;   in Loop: Header=BB64_17 Depth=1
	v_lshl_add_u64 v[22:23], v[14:15], 0, v[4:5]
	v_lshl_add_u64 v[24:25], v[16:17], 0, v[8:9]
	v_cndmask_b32_e64 v23, v23, v25, s[10:11]
	v_cndmask_b32_e64 v22, v22, v24, s[10:11]
	global_load_sbyte v22, v[22:23], off
	s_waitcnt vmcnt(0)
	ds_write_b32 v20, v22
.LBB64_20:                              ;   in Loop: Header=BB64_17 Depth=1
	s_or_b64 exec, exec, s[22:23]
	s_and_b64 exec, exec, s[8:9]
	s_cbranch_execz .LBB64_22
; %bb.21:                               ;   in Loop: Header=BB64_17 Depth=1
	v_lshl_add_u64 v[16:17], v[16:17], 0, v[10:11]
	v_lshl_add_u64 v[14:15], v[14:15], 0, v[2:3]
	v_cndmask_b32_e64 v15, v15, v17, s[10:11]
	v_cndmask_b32_e64 v14, v14, v16, s[10:11]
	global_load_sbyte v14, v[14:15], off
	s_waitcnt vmcnt(0)
	ds_write_b32 v20, v14 offset:256
.LBB64_22:                              ;   in Loop: Header=BB64_17 Depth=1
	s_or_b64 exec, exec, s[12:13]
	s_and_saveexec_b64 s[12:13], s[36:37]
	s_cbranch_execz .LBB64_24
; %bb.23:                               ;   in Loop: Header=BB64_17 Depth=1
	v_mov_b32_e32 v14, s14
	v_mad_u64_u32 v[14:15], s[22:23], s34, v14, v[12:13]
	s_mul_i32 s22, s35, s14
	s_nop 0
	v_add_u32_e32 v15, s22, v15
	global_load_sbyte v14, v[14:15], off
	s_waitcnt vmcnt(0)
	ds_write_b32 v21, v14
.LBB64_24:                              ;   in Loop: Header=BB64_17 Depth=1
	s_or_b64 exec, exec, s[12:13]
	s_waitcnt lgkmcnt(0)
	; wave barrier
	s_and_saveexec_b64 s[12:13], s[4:5]
	s_cbranch_execz .LBB64_16
; %bb.25:                               ;   in Loop: Header=BB64_17 Depth=1
	s_and_saveexec_b64 s[22:23], s[6:7]
	s_cbranch_execz .LBB64_29
; %bb.26:                               ;   in Loop: Header=BB64_17 Depth=1
	v_mov_b32_e32 v16, v7
	v_mov_b32_e32 v17, v18
	s_mov_b32 s39, s3
.LBB64_27:                              ;   Parent Loop BB64_17 Depth=1
                                        ; =>  This Inner Loop Header: Depth=2
	ds_read_b32 v14, v16
	ds_read_b32 v15, v17
	s_add_i32 s39, s39, -1
	v_add_u32_e32 v17, 4, v17
	v_add_u32_e32 v16, 4, v16
	s_cmp_lg_u32 s39, 0
	s_waitcnt lgkmcnt(0)
	v_mad_u64_u32 v[14:15], s[40:41], v15, v14, v[0:1]
	v_mov_b32_e32 v15, v1
	v_mov_b64_e32 v[0:1], v[14:15]
	s_cbranch_scc1 .LBB64_27
; %bb.28:                               ;   in Loop: Header=BB64_17 Depth=1
	v_mov_b64_e32 v[0:1], v[14:15]
.LBB64_29:                              ;   in Loop: Header=BB64_17 Depth=1
	s_or_b64 exec, exec, s[22:23]
	s_and_saveexec_b64 s[22:23], s[8:9]
	s_cbranch_execz .LBB64_15
; %bb.30:                               ;   in Loop: Header=BB64_17 Depth=1
	v_mov_b32_e32 v14, v7
	s_mov_b32 s39, s3
	v_mov_b32_e32 v15, v19
.LBB64_31:                              ;   Parent Loop BB64_17 Depth=1
                                        ; =>  This Inner Loop Header: Depth=2
	ds_read_b32 v17, v14
	ds_read_b32 v22, v15
	v_mov_b32_e32 v16, v1
	s_add_i32 s39, s39, -1
	v_add_u32_e32 v15, 4, v15
	v_add_u32_e32 v14, 4, v14
	s_waitcnt lgkmcnt(0)
	v_mad_u64_u32 v[16:17], s[40:41], v22, v17, v[16:17]
	s_cmp_lg_u32 s39, 0
	v_mov_b32_e32 v1, v16
	s_cbranch_scc1 .LBB64_31
	s_branch .LBB64_15
.LBB64_32:
	v_mov_b32_e32 v0, 0
	v_mov_b32_e32 v1, v0
.LBB64_33:
	s_and_b64 s[4:5], s[18:19], s[4:5]
	s_and_saveexec_b64 s[6:7], s[4:5]
	s_cbranch_execz .LBB64_53
; %bb.34:
	s_mul_i32 s2, s3, s2
	v_add_u32_e32 v6, s2, v6
	s_load_dwordx2 s[2:3], s[0:1], 0x70
	v_ashrrev_i32_e32 v7, 31, v6
	s_cmp_lg_u32 s38, 0
	s_cselect_b64 s[0:1], -1, 0
	s_cmp_lg_u32 s16, 1
	s_waitcnt lgkmcnt(0)
	v_mul_lo_u32 v3, s2, v7
	v_mul_lo_u32 v5, s3, v6
	v_mad_u64_u32 v[8:9], s[6:7], s2, v6, 0
	v_add3_u32 v9, v9, v3, v5
	s_cselect_b64 s[4:5], -1, 0
	v_lshl_add_u64 v[8:9], v[8:9], 2, s[28:29]
	v_lshl_add_u64 v[6:7], v[6:7], 2, s[28:29]
	v_cmp_gt_i32_e32 vcc, s15, v4
	s_and_saveexec_b64 s[6:7], vcc
	s_cbranch_execz .LBB64_46
; %bb.35:
	s_and_b64 vcc, exec, s[0:1]
	v_ashrrev_i32_e32 v5, 31, v4
	s_mov_b64 s[8:9], -1
	s_cbranch_vccz .LBB64_41
; %bb.36:
	s_and_b64 vcc, exec, s[4:5]
	s_cbranch_vccz .LBB64_38
; %bb.37:
	v_lshl_add_u64 v[10:11], v[4:5], 2, v[8:9]
	global_load_dword v3, v[10:11], off
	v_mul_lo_u32 v12, v0, s33
	s_waitcnt vmcnt(0)
	v_mad_u64_u32 v[12:13], s[8:9], v3, s38, v[12:13]
	global_store_dword v[10:11], v12, off
	s_mov_b64 s[8:9], 0
.LBB64_38:
	s_andn2_b64 vcc, exec, s[8:9]
	s_cbranch_vccnz .LBB64_40
; %bb.39:
	v_mul_lo_u32 v3, s3, v4
	v_mul_lo_u32 v12, s2, v5
	v_mad_u64_u32 v[10:11], s[8:9], s2, v4, 0
	v_add3_u32 v11, v11, v12, v3
	v_lshl_add_u64 v[10:11], v[10:11], 2, v[6:7]
	global_load_dword v3, v[10:11], off
	v_mul_lo_u32 v12, v0, s33
	s_waitcnt vmcnt(0)
	v_mad_u64_u32 v[12:13], s[8:9], v3, s38, v[12:13]
	global_store_dword v[10:11], v12, off
.LBB64_40:
	s_mov_b64 s[8:9], 0
.LBB64_41:
	s_andn2_b64 vcc, exec, s[8:9]
	s_cbranch_vccnz .LBB64_46
; %bb.42:
	v_mul_lo_u32 v0, v0, s33
	s_mov_b64 s[8:9], -1
	s_and_b64 vcc, exec, s[4:5]
	s_cbranch_vccz .LBB64_44
; %bb.43:
	v_lshl_add_u64 v[10:11], v[4:5], 2, v[8:9]
	global_store_dword v[10:11], v0, off
	s_mov_b64 s[8:9], 0
.LBB64_44:
	s_andn2_b64 vcc, exec, s[8:9]
	s_cbranch_vccnz .LBB64_46
; %bb.45:
	v_mul_lo_u32 v3, s3, v4
	v_mul_lo_u32 v10, s2, v5
	v_mad_u64_u32 v[4:5], s[8:9], s2, v4, 0
	v_add3_u32 v5, v5, v10, v3
	v_lshl_add_u64 v[4:5], v[4:5], 2, v[6:7]
	global_store_dword v[4:5], v0, off
.LBB64_46:
	s_or_b64 exec, exec, s[6:7]
	v_cmp_gt_i32_e32 vcc, s15, v2
	s_and_b64 exec, exec, vcc
	s_cbranch_execz .LBB64_53
; %bb.47:
	v_cndmask_b32_e64 v0, 0, 1, s[4:5]
	s_andn2_b64 vcc, exec, s[0:1]
	v_ashrrev_i32_e32 v3, 31, v2
	v_cmp_ne_u32_e64 s[0:1], 1, v0
	s_cbranch_vccnz .LBB64_54
; %bb.48:
	s_and_b64 vcc, exec, s[0:1]
	s_mov_b64 s[4:5], -1
	s_cbranch_vccnz .LBB64_50
; %bb.49:
	v_lshl_add_u64 v[4:5], v[2:3], 2, v[8:9]
	global_load_dword v10, v[4:5], off
	v_mul_lo_u32 v0, v1, s33
	s_waitcnt vmcnt(0)
	v_mad_u64_u32 v[10:11], s[4:5], v10, s38, v[0:1]
	s_mov_b64 s[4:5], 0
	global_store_dword v[4:5], v10, off
.LBB64_50:
	s_andn2_b64 vcc, exec, s[4:5]
	s_cbranch_vccnz .LBB64_52
; %bb.51:
	v_mul_lo_u32 v0, s3, v2
	v_mul_lo_u32 v10, s2, v3
	v_mad_u64_u32 v[4:5], s[4:5], s2, v2, 0
	v_add3_u32 v5, v5, v10, v0
	v_lshl_add_u64 v[4:5], v[4:5], 2, v[6:7]
	global_load_dword v10, v[4:5], off
	v_mul_lo_u32 v0, v1, s33
	s_waitcnt vmcnt(0)
	v_mad_u64_u32 v[10:11], s[4:5], v10, s38, v[0:1]
	global_store_dword v[4:5], v10, off
.LBB64_52:
	s_cbranch_execz .LBB64_55
.LBB64_53:
	s_endpgm
.LBB64_54:
.LBB64_55:
	v_mul_lo_u32 v0, v1, s33
	s_and_b64 vcc, exec, s[0:1]
	s_mov_b64 s[0:1], -1
	s_cbranch_vccnz .LBB64_57
; %bb.56:
	v_lshl_add_u64 v[4:5], v[2:3], 2, v[8:9]
	s_mov_b64 s[0:1], 0
	global_store_dword v[4:5], v0, off
.LBB64_57:
	s_andn2_b64 vcc, exec, s[0:1]
	s_cbranch_vccnz .LBB64_53
; %bb.58:
	v_mul_lo_u32 v1, s3, v2
	v_mul_lo_u32 v4, s2, v3
	v_mad_u64_u32 v[2:3], s[0:1], s2, v2, 0
	v_add3_u32 v3, v3, v4, v1
	v_lshl_add_u64 v[2:3], v[2:3], 2, v[6:7]
	global_store_dword v[2:3], v0, off
	s_endpgm
	.section	.rodata,"a",@progbits
	.p2align	6, 0x0
	.amdhsa_kernel _ZN9rocsparseL31bsrmm_large_blockdim_kernel_extILj8ELj8ELj2EliaaiiEEvb20rocsparse_direction_T3_S2_llNS_24const_host_device_scalarIT7_EEPKT2_PKS2_PKT4_S2_PKT5_llS5_PT6_ll16rocsparse_order_21rocsparse_index_base_b
		.amdhsa_group_segment_fixed_size 768
		.amdhsa_private_segment_fixed_size 0
		.amdhsa_kernarg_size 140
		.amdhsa_user_sgpr_count 2
		.amdhsa_user_sgpr_dispatch_ptr 0
		.amdhsa_user_sgpr_queue_ptr 0
		.amdhsa_user_sgpr_kernarg_segment_ptr 1
		.amdhsa_user_sgpr_dispatch_id 0
		.amdhsa_user_sgpr_kernarg_preload_length 0
		.amdhsa_user_sgpr_kernarg_preload_offset 0
		.amdhsa_user_sgpr_private_segment_size 0
		.amdhsa_uses_dynamic_stack 0
		.amdhsa_enable_private_segment 0
		.amdhsa_system_sgpr_workgroup_id_x 1
		.amdhsa_system_sgpr_workgroup_id_y 1
		.amdhsa_system_sgpr_workgroup_id_z 0
		.amdhsa_system_sgpr_workgroup_info 0
		.amdhsa_system_vgpr_workitem_id 1
		.amdhsa_next_free_vgpr 26
		.amdhsa_next_free_sgpr 42
		.amdhsa_accum_offset 28
		.amdhsa_reserve_vcc 1
		.amdhsa_float_round_mode_32 0
		.amdhsa_float_round_mode_16_64 0
		.amdhsa_float_denorm_mode_32 3
		.amdhsa_float_denorm_mode_16_64 3
		.amdhsa_dx10_clamp 1
		.amdhsa_ieee_mode 1
		.amdhsa_fp16_overflow 0
		.amdhsa_tg_split 0
		.amdhsa_exception_fp_ieee_invalid_op 0
		.amdhsa_exception_fp_denorm_src 0
		.amdhsa_exception_fp_ieee_div_zero 0
		.amdhsa_exception_fp_ieee_overflow 0
		.amdhsa_exception_fp_ieee_underflow 0
		.amdhsa_exception_fp_ieee_inexact 0
		.amdhsa_exception_int_div_zero 0
	.end_amdhsa_kernel
	.section	.text._ZN9rocsparseL31bsrmm_large_blockdim_kernel_extILj8ELj8ELj2EliaaiiEEvb20rocsparse_direction_T3_S2_llNS_24const_host_device_scalarIT7_EEPKT2_PKS2_PKT4_S2_PKT5_llS5_PT6_ll16rocsparse_order_21rocsparse_index_base_b,"axG",@progbits,_ZN9rocsparseL31bsrmm_large_blockdim_kernel_extILj8ELj8ELj2EliaaiiEEvb20rocsparse_direction_T3_S2_llNS_24const_host_device_scalarIT7_EEPKT2_PKS2_PKT4_S2_PKT5_llS5_PT6_ll16rocsparse_order_21rocsparse_index_base_b,comdat
.Lfunc_end64:
	.size	_ZN9rocsparseL31bsrmm_large_blockdim_kernel_extILj8ELj8ELj2EliaaiiEEvb20rocsparse_direction_T3_S2_llNS_24const_host_device_scalarIT7_EEPKT2_PKS2_PKT4_S2_PKT5_llS5_PT6_ll16rocsparse_order_21rocsparse_index_base_b, .Lfunc_end64-_ZN9rocsparseL31bsrmm_large_blockdim_kernel_extILj8ELj8ELj2EliaaiiEEvb20rocsparse_direction_T3_S2_llNS_24const_host_device_scalarIT7_EEPKT2_PKS2_PKT4_S2_PKT5_llS5_PT6_ll16rocsparse_order_21rocsparse_index_base_b
                                        ; -- End function
	.set _ZN9rocsparseL31bsrmm_large_blockdim_kernel_extILj8ELj8ELj2EliaaiiEEvb20rocsparse_direction_T3_S2_llNS_24const_host_device_scalarIT7_EEPKT2_PKS2_PKT4_S2_PKT5_llS5_PT6_ll16rocsparse_order_21rocsparse_index_base_b.num_vgpr, 26
	.set _ZN9rocsparseL31bsrmm_large_blockdim_kernel_extILj8ELj8ELj2EliaaiiEEvb20rocsparse_direction_T3_S2_llNS_24const_host_device_scalarIT7_EEPKT2_PKS2_PKT4_S2_PKT5_llS5_PT6_ll16rocsparse_order_21rocsparse_index_base_b.num_agpr, 0
	.set _ZN9rocsparseL31bsrmm_large_blockdim_kernel_extILj8ELj8ELj2EliaaiiEEvb20rocsparse_direction_T3_S2_llNS_24const_host_device_scalarIT7_EEPKT2_PKS2_PKT4_S2_PKT5_llS5_PT6_ll16rocsparse_order_21rocsparse_index_base_b.numbered_sgpr, 42
	.set _ZN9rocsparseL31bsrmm_large_blockdim_kernel_extILj8ELj8ELj2EliaaiiEEvb20rocsparse_direction_T3_S2_llNS_24const_host_device_scalarIT7_EEPKT2_PKS2_PKT4_S2_PKT5_llS5_PT6_ll16rocsparse_order_21rocsparse_index_base_b.num_named_barrier, 0
	.set _ZN9rocsparseL31bsrmm_large_blockdim_kernel_extILj8ELj8ELj2EliaaiiEEvb20rocsparse_direction_T3_S2_llNS_24const_host_device_scalarIT7_EEPKT2_PKS2_PKT4_S2_PKT5_llS5_PT6_ll16rocsparse_order_21rocsparse_index_base_b.private_seg_size, 0
	.set _ZN9rocsparseL31bsrmm_large_blockdim_kernel_extILj8ELj8ELj2EliaaiiEEvb20rocsparse_direction_T3_S2_llNS_24const_host_device_scalarIT7_EEPKT2_PKS2_PKT4_S2_PKT5_llS5_PT6_ll16rocsparse_order_21rocsparse_index_base_b.uses_vcc, 1
	.set _ZN9rocsparseL31bsrmm_large_blockdim_kernel_extILj8ELj8ELj2EliaaiiEEvb20rocsparse_direction_T3_S2_llNS_24const_host_device_scalarIT7_EEPKT2_PKS2_PKT4_S2_PKT5_llS5_PT6_ll16rocsparse_order_21rocsparse_index_base_b.uses_flat_scratch, 0
	.set _ZN9rocsparseL31bsrmm_large_blockdim_kernel_extILj8ELj8ELj2EliaaiiEEvb20rocsparse_direction_T3_S2_llNS_24const_host_device_scalarIT7_EEPKT2_PKS2_PKT4_S2_PKT5_llS5_PT6_ll16rocsparse_order_21rocsparse_index_base_b.has_dyn_sized_stack, 0
	.set _ZN9rocsparseL31bsrmm_large_blockdim_kernel_extILj8ELj8ELj2EliaaiiEEvb20rocsparse_direction_T3_S2_llNS_24const_host_device_scalarIT7_EEPKT2_PKS2_PKT4_S2_PKT5_llS5_PT6_ll16rocsparse_order_21rocsparse_index_base_b.has_recursion, 0
	.set _ZN9rocsparseL31bsrmm_large_blockdim_kernel_extILj8ELj8ELj2EliaaiiEEvb20rocsparse_direction_T3_S2_llNS_24const_host_device_scalarIT7_EEPKT2_PKS2_PKT4_S2_PKT5_llS5_PT6_ll16rocsparse_order_21rocsparse_index_base_b.has_indirect_call, 0
	.section	.AMDGPU.csdata,"",@progbits
; Kernel info:
; codeLenInByte = 1784
; TotalNumSgprs: 48
; NumVgprs: 26
; NumAgprs: 0
; TotalNumVgprs: 26
; ScratchSize: 0
; MemoryBound: 0
; FloatMode: 240
; IeeeMode: 1
; LDSByteSize: 768 bytes/workgroup (compile time only)
; SGPRBlocks: 5
; VGPRBlocks: 3
; NumSGPRsForWavesPerEU: 48
; NumVGPRsForWavesPerEU: 26
; AccumOffset: 28
; Occupancy: 8
; WaveLimiterHint : 1
; COMPUTE_PGM_RSRC2:SCRATCH_EN: 0
; COMPUTE_PGM_RSRC2:USER_SGPR: 2
; COMPUTE_PGM_RSRC2:TRAP_HANDLER: 0
; COMPUTE_PGM_RSRC2:TGID_X_EN: 1
; COMPUTE_PGM_RSRC2:TGID_Y_EN: 1
; COMPUTE_PGM_RSRC2:TGID_Z_EN: 0
; COMPUTE_PGM_RSRC2:TIDIG_COMP_CNT: 1
; COMPUTE_PGM_RSRC3_GFX90A:ACCUM_OFFSET: 6
; COMPUTE_PGM_RSRC3_GFX90A:TG_SPLIT: 0
	.section	.text._ZN9rocsparseL31bsrmm_large_blockdim_kernel_extILj4ELj16ELj2EliaaiiEEvb20rocsparse_direction_T3_S2_llNS_24const_host_device_scalarIT7_EEPKT2_PKS2_PKT4_S2_PKT5_llS5_PT6_ll16rocsparse_order_21rocsparse_index_base_b,"axG",@progbits,_ZN9rocsparseL31bsrmm_large_blockdim_kernel_extILj4ELj16ELj2EliaaiiEEvb20rocsparse_direction_T3_S2_llNS_24const_host_device_scalarIT7_EEPKT2_PKS2_PKT4_S2_PKT5_llS5_PT6_ll16rocsparse_order_21rocsparse_index_base_b,comdat
	.globl	_ZN9rocsparseL31bsrmm_large_blockdim_kernel_extILj4ELj16ELj2EliaaiiEEvb20rocsparse_direction_T3_S2_llNS_24const_host_device_scalarIT7_EEPKT2_PKS2_PKT4_S2_PKT5_llS5_PT6_ll16rocsparse_order_21rocsparse_index_base_b ; -- Begin function _ZN9rocsparseL31bsrmm_large_blockdim_kernel_extILj4ELj16ELj2EliaaiiEEvb20rocsparse_direction_T3_S2_llNS_24const_host_device_scalarIT7_EEPKT2_PKS2_PKT4_S2_PKT5_llS5_PT6_ll16rocsparse_order_21rocsparse_index_base_b
	.p2align	8
	.type	_ZN9rocsparseL31bsrmm_large_blockdim_kernel_extILj4ELj16ELj2EliaaiiEEvb20rocsparse_direction_T3_S2_llNS_24const_host_device_scalarIT7_EEPKT2_PKS2_PKT4_S2_PKT5_llS5_PT6_ll16rocsparse_order_21rocsparse_index_base_b,@function
_ZN9rocsparseL31bsrmm_large_blockdim_kernel_extILj4ELj16ELj2EliaaiiEEvb20rocsparse_direction_T3_S2_llNS_24const_host_device_scalarIT7_EEPKT2_PKS2_PKT4_S2_PKT5_llS5_PT6_ll16rocsparse_order_21rocsparse_index_base_b: ; @_ZN9rocsparseL31bsrmm_large_blockdim_kernel_extILj4ELj16ELj2EliaaiiEEvb20rocsparse_direction_T3_S2_llNS_24const_host_device_scalarIT7_EEPKT2_PKS2_PKT4_S2_PKT5_llS5_PT6_ll16rocsparse_order_21rocsparse_index_base_b
; %bb.0:
	s_load_dwordx4 s[16:19], s[0:1], 0x80
	s_load_dwordx2 s[10:11], s[0:1], 0x20
	s_mov_b32 s4, s3
	s_mov_b64 s[12:13], -1
                                        ; implicit-def: $sgpr33
	s_waitcnt lgkmcnt(0)
	s_bitcmp1_b32 s18, 0
	s_cselect_b64 s[6:7], -1, 0
	s_xor_b64 s[8:9], s[6:7], -1
	s_and_b64 vcc, exec, s[8:9]
	s_cbranch_vccnz .LBB65_4
; %bb.1:
	s_load_dwordx2 s[6:7], s[0:1], 0x60
	s_andn2_b64 vcc, exec, s[12:13]
	s_cbranch_vccz .LBB65_5
.LBB65_2:
	s_and_b64 vcc, exec, s[8:9]
	s_cbranch_vccz .LBB65_6
.LBB65_3:
	s_waitcnt lgkmcnt(0)
	s_load_dword s38, s[6:7], 0x0
	s_cbranch_execz .LBB65_7
	s_branch .LBB65_8
.LBB65_4:
	s_load_dword s33, s[10:11], 0x0
	s_load_dwordx2 s[6:7], s[0:1], 0x60
	s_cbranch_execnz .LBB65_2
.LBB65_5:
	s_waitcnt lgkmcnt(0)
	s_mov_b32 s33, s10
	s_and_b64 vcc, exec, s[8:9]
	s_cbranch_vccnz .LBB65_3
.LBB65_6:
                                        ; implicit-def: $sgpr38
.LBB65_7:
	s_waitcnt lgkmcnt(0)
	s_mov_b32 s38, s6
.LBB65_8:
	s_waitcnt lgkmcnt(0)
	s_cmp_eq_u32 s33, 0
	s_cselect_b64 s[6:7], -1, 0
	s_cmp_eq_u32 s38, 1
	s_cselect_b64 s[8:9], -1, 0
	s_and_b64 s[6:7], s[6:7], s[8:9]
	s_and_b64 vcc, exec, s[6:7]
	s_cbranch_vccnz .LBB65_53
; %bb.9:
	s_load_dwordx4 s[12:15], s[0:1], 0x0
	s_load_dwordx2 s[6:7], s[0:1], 0x28
	s_mov_b64 s[30:31], 0
	s_mov_b64 s[34:35], 0
	s_waitcnt lgkmcnt(0)
	s_cmp_lt_i32 s2, s14
	s_cselect_b64 s[18:19], -1, 0
	s_cmp_ge_i32 s2, s14
	s_cbranch_scc1 .LBB65_11
; %bb.10:
	s_ashr_i32 s3, s2, 31
	s_lshl_b64 s[8:9], s[2:3], 3
	s_add_u32 s8, s6, s8
	s_addc_u32 s9, s7, s9
	s_load_dwordx2 s[8:9], s[8:9], 0x0
	s_waitcnt lgkmcnt(0)
	s_sub_u32 s34, s8, s17
	s_subb_u32 s35, s9, 0
.LBB65_11:
	s_andn2_b64 vcc, exec, s[18:19]
	s_cbranch_vccnz .LBB65_13
; %bb.12:
	s_ashr_i32 s3, s2, 31
	s_lshl_b64 s[8:9], s[2:3], 3
	s_add_u32 s6, s6, s8
	s_addc_u32 s7, s7, s9
	s_load_dwordx2 s[6:7], s[6:7], 0x8
	s_waitcnt lgkmcnt(0)
	s_sub_u32 s30, s6, s17
	s_subb_u32 s31, s7, 0
.LBB65_13:
	s_load_dwordx2 s[28:29], s[0:1], 0x68
	s_load_dword s3, s[0:1], 0x40
	v_bfe_u32 v8, v0, 10, 10
	v_lshl_add_u32 v4, s4, 5, v8
	v_and_b32_e32 v6, 0x3ff, v0
	v_mov_b64_e32 v[0:1], s[30:31]
	v_add_u32_e32 v2, 16, v4
	v_cmp_ge_i64_e32 vcc, s[34:35], v[0:1]
	s_waitcnt lgkmcnt(0)
	v_cmp_gt_i32_e64 s[4:5], s3, v6
	v_cmp_gt_i32_e64 s[6:7], s15, v4
	;; [unrolled: 1-line block ×3, first 2 shown]
	s_cbranch_vccnz .LBB65_32
; %bb.14:
	s_load_dwordx4 s[20:23], s[0:1], 0x30
	s_load_dwordx4 s[24:27], s[0:1], 0x48
	v_mov_b32_e32 v0, 0x200
	v_cmp_gt_i32_e32 vcc, s3, v8
	v_lshl_add_u32 v16, v8, 2, v0
	v_mul_lo_u32 v0, s3, v8
	v_mov_b32_e32 v1, 0
	s_and_b64 s[36:37], s[4:5], vcc
	v_mov_b32_e32 v7, v1
	s_waitcnt lgkmcnt(0)
	v_lshl_add_u64 v[10:11], s[22:23], 0, v[0:1]
	v_mul_lo_u32 v0, s3, v6
	s_bitcmp1_b32 s12, 0
	v_lshl_add_u64 v[12:13], v[10:11], 0, v[6:7]
	v_mov_b32_e32 v9, v1
	v_lshl_add_u64 v[10:11], s[22:23], 0, v[0:1]
	v_ashrrev_i32_e32 v5, 31, v4
	s_cselect_b64 s[10:11], -1, 0
	v_lshlrev_b32_e32 v18, 4, v8
	s_cmp_eq_u32 s13, 0
	v_lshl_add_u64 v[14:15], v[10:11], 0, v[8:9]
	v_mul_lo_u32 v0, s27, v4
	v_mul_lo_u32 v3, s26, v5
	v_mad_u64_u32 v[8:9], s[12:13], s26, v4, 0
	v_add3_u32 v9, v9, v3, v0
	v_ashrrev_i32_e32 v3, 31, v2
	v_lshlrev_b32_e32 v17, 2, v6
	v_lshlrev_b32_e32 v21, 4, v6
	v_mul_lo_u32 v0, s27, v2
	v_mul_lo_u32 v7, s26, v3
	v_mad_u64_u32 v[10:11], s[12:13], s26, v2, 0
	s_cselect_b64 vcc, -1, 0
	s_mul_i32 s14, s3, s3
	v_add3_u32 v11, v11, v7, v0
	v_cndmask_b32_e32 v13, v13, v15, vcc
	v_cndmask_b32_e32 v12, v12, v14, vcc
	v_add_u32_e32 v7, 0x200, v21
	v_add_u32_e32 v19, 0x100, v18
	v_mov_b32_e32 v0, v1
	v_add_u32_e32 v20, v17, v18
	v_add_u32_e32 v21, v16, v21
	s_branch .LBB65_17
.LBB65_15:                              ;   in Loop: Header=BB65_17 Depth=1
	s_or_b64 exec, exec, s[22:23]
.LBB65_16:                              ;   in Loop: Header=BB65_17 Depth=1
	s_or_b64 exec, exec, s[12:13]
	s_add_u32 s34, s34, 1
	s_addc_u32 s35, s35, 0
	v_mov_b64_e32 v[14:15], s[30:31]
	v_cmp_ge_i64_e32 vcc, s[34:35], v[14:15]
	; wave barrier
	s_cbranch_vccnz .LBB65_33
.LBB65_17:                              ; =>This Loop Header: Depth=1
                                        ;     Child Loop BB65_27 Depth 2
                                        ;     Child Loop BB65_31 Depth 2
	s_and_saveexec_b64 s[12:13], s[4:5]
	s_cbranch_execz .LBB65_22
; %bb.18:                               ;   in Loop: Header=BB65_17 Depth=1
	s_lshl_b64 s[22:23], s[34:35], 2
	s_add_u32 s22, s20, s22
	s_addc_u32 s23, s21, s23
	s_load_dword s22, s[22:23], 0x0
	v_mov_b64_e32 v[14:15], s[24:25]
	s_waitcnt lgkmcnt(0)
	s_sub_i32 s22, s22, s17
	s_mul_i32 s22, s22, s3
	v_add_u32_e32 v16, s22, v6
	v_ashrrev_i32_e32 v17, 31, v16
	v_mul_lo_u32 v22, s27, v16
	v_mad_u64_u32 v[14:15], s[22:23], s26, v16, v[14:15]
	v_mul_lo_u32 v23, s26, v17
	v_add3_u32 v15, v22, v15, v23
	v_lshl_add_u64 v[16:17], s[24:25], 0, v[16:17]
	s_and_saveexec_b64 s[22:23], s[6:7]
	s_cbranch_execz .LBB65_20
; %bb.19:                               ;   in Loop: Header=BB65_17 Depth=1
	v_lshl_add_u64 v[22:23], v[14:15], 0, v[4:5]
	v_lshl_add_u64 v[24:25], v[16:17], 0, v[8:9]
	v_cndmask_b32_e64 v23, v23, v25, s[10:11]
	v_cndmask_b32_e64 v22, v22, v24, s[10:11]
	global_load_sbyte v22, v[22:23], off
	s_waitcnt vmcnt(0)
	ds_write_b32 v20, v22
.LBB65_20:                              ;   in Loop: Header=BB65_17 Depth=1
	s_or_b64 exec, exec, s[22:23]
	s_and_b64 exec, exec, s[8:9]
	s_cbranch_execz .LBB65_22
; %bb.21:                               ;   in Loop: Header=BB65_17 Depth=1
	v_lshl_add_u64 v[16:17], v[16:17], 0, v[10:11]
	v_lshl_add_u64 v[14:15], v[14:15], 0, v[2:3]
	v_cndmask_b32_e64 v15, v15, v17, s[10:11]
	v_cndmask_b32_e64 v14, v14, v16, s[10:11]
	global_load_sbyte v14, v[14:15], off
	s_waitcnt vmcnt(0)
	ds_write_b32 v20, v14 offset:256
.LBB65_22:                              ;   in Loop: Header=BB65_17 Depth=1
	s_or_b64 exec, exec, s[12:13]
	s_and_saveexec_b64 s[12:13], s[36:37]
	s_cbranch_execz .LBB65_24
; %bb.23:                               ;   in Loop: Header=BB65_17 Depth=1
	v_mov_b32_e32 v14, s14
	v_mad_u64_u32 v[14:15], s[22:23], s34, v14, v[12:13]
	s_mul_i32 s22, s35, s14
	s_nop 0
	v_add_u32_e32 v15, s22, v15
	global_load_sbyte v14, v[14:15], off
	s_waitcnt vmcnt(0)
	ds_write_b32 v21, v14
.LBB65_24:                              ;   in Loop: Header=BB65_17 Depth=1
	s_or_b64 exec, exec, s[12:13]
	s_waitcnt lgkmcnt(0)
	; wave barrier
	s_and_saveexec_b64 s[12:13], s[4:5]
	s_cbranch_execz .LBB65_16
; %bb.25:                               ;   in Loop: Header=BB65_17 Depth=1
	s_and_saveexec_b64 s[22:23], s[6:7]
	s_cbranch_execz .LBB65_29
; %bb.26:                               ;   in Loop: Header=BB65_17 Depth=1
	v_mov_b32_e32 v16, v7
	v_mov_b32_e32 v17, v18
	s_mov_b32 s39, s3
.LBB65_27:                              ;   Parent Loop BB65_17 Depth=1
                                        ; =>  This Inner Loop Header: Depth=2
	ds_read_b32 v14, v16
	ds_read_b32 v15, v17
	s_add_i32 s39, s39, -1
	v_add_u32_e32 v17, 4, v17
	v_add_u32_e32 v16, 4, v16
	s_cmp_lg_u32 s39, 0
	s_waitcnt lgkmcnt(0)
	v_mad_u64_u32 v[14:15], s[40:41], v15, v14, v[0:1]
	v_mov_b32_e32 v15, v1
	v_mov_b64_e32 v[0:1], v[14:15]
	s_cbranch_scc1 .LBB65_27
; %bb.28:                               ;   in Loop: Header=BB65_17 Depth=1
	v_mov_b64_e32 v[0:1], v[14:15]
.LBB65_29:                              ;   in Loop: Header=BB65_17 Depth=1
	s_or_b64 exec, exec, s[22:23]
	s_and_saveexec_b64 s[22:23], s[8:9]
	s_cbranch_execz .LBB65_15
; %bb.30:                               ;   in Loop: Header=BB65_17 Depth=1
	v_mov_b32_e32 v14, v7
	s_mov_b32 s39, s3
	v_mov_b32_e32 v15, v19
.LBB65_31:                              ;   Parent Loop BB65_17 Depth=1
                                        ; =>  This Inner Loop Header: Depth=2
	ds_read_b32 v17, v14
	ds_read_b32 v22, v15
	v_mov_b32_e32 v16, v1
	s_add_i32 s39, s39, -1
	v_add_u32_e32 v15, 4, v15
	v_add_u32_e32 v14, 4, v14
	s_waitcnt lgkmcnt(0)
	v_mad_u64_u32 v[16:17], s[40:41], v22, v17, v[16:17]
	s_cmp_lg_u32 s39, 0
	v_mov_b32_e32 v1, v16
	s_cbranch_scc1 .LBB65_31
	s_branch .LBB65_15
.LBB65_32:
	v_mov_b32_e32 v0, 0
	v_mov_b32_e32 v1, v0
.LBB65_33:
	s_and_b64 s[4:5], s[18:19], s[4:5]
	s_and_saveexec_b64 s[6:7], s[4:5]
	s_cbranch_execz .LBB65_53
; %bb.34:
	s_mul_i32 s2, s3, s2
	v_add_u32_e32 v6, s2, v6
	s_load_dwordx2 s[2:3], s[0:1], 0x70
	v_ashrrev_i32_e32 v7, 31, v6
	s_cmp_lg_u32 s38, 0
	s_cselect_b64 s[0:1], -1, 0
	s_cmp_lg_u32 s16, 1
	s_waitcnt lgkmcnt(0)
	v_mul_lo_u32 v3, s2, v7
	v_mul_lo_u32 v5, s3, v6
	v_mad_u64_u32 v[8:9], s[6:7], s2, v6, 0
	v_add3_u32 v9, v9, v3, v5
	s_cselect_b64 s[4:5], -1, 0
	v_lshl_add_u64 v[8:9], v[8:9], 2, s[28:29]
	v_lshl_add_u64 v[6:7], v[6:7], 2, s[28:29]
	v_cmp_gt_i32_e32 vcc, s15, v4
	s_and_saveexec_b64 s[6:7], vcc
	s_cbranch_execz .LBB65_46
; %bb.35:
	s_and_b64 vcc, exec, s[0:1]
	v_ashrrev_i32_e32 v5, 31, v4
	s_mov_b64 s[8:9], -1
	s_cbranch_vccz .LBB65_41
; %bb.36:
	s_and_b64 vcc, exec, s[4:5]
	s_cbranch_vccz .LBB65_38
; %bb.37:
	v_lshl_add_u64 v[10:11], v[4:5], 2, v[8:9]
	global_load_dword v3, v[10:11], off
	v_mul_lo_u32 v12, v0, s33
	s_waitcnt vmcnt(0)
	v_mad_u64_u32 v[12:13], s[8:9], v3, s38, v[12:13]
	global_store_dword v[10:11], v12, off
	s_mov_b64 s[8:9], 0
.LBB65_38:
	s_andn2_b64 vcc, exec, s[8:9]
	s_cbranch_vccnz .LBB65_40
; %bb.39:
	v_mul_lo_u32 v3, s3, v4
	v_mul_lo_u32 v12, s2, v5
	v_mad_u64_u32 v[10:11], s[8:9], s2, v4, 0
	v_add3_u32 v11, v11, v12, v3
	v_lshl_add_u64 v[10:11], v[10:11], 2, v[6:7]
	global_load_dword v3, v[10:11], off
	v_mul_lo_u32 v12, v0, s33
	s_waitcnt vmcnt(0)
	v_mad_u64_u32 v[12:13], s[8:9], v3, s38, v[12:13]
	global_store_dword v[10:11], v12, off
.LBB65_40:
	s_mov_b64 s[8:9], 0
.LBB65_41:
	s_andn2_b64 vcc, exec, s[8:9]
	s_cbranch_vccnz .LBB65_46
; %bb.42:
	v_mul_lo_u32 v0, v0, s33
	s_mov_b64 s[8:9], -1
	s_and_b64 vcc, exec, s[4:5]
	s_cbranch_vccz .LBB65_44
; %bb.43:
	v_lshl_add_u64 v[10:11], v[4:5], 2, v[8:9]
	global_store_dword v[10:11], v0, off
	s_mov_b64 s[8:9], 0
.LBB65_44:
	s_andn2_b64 vcc, exec, s[8:9]
	s_cbranch_vccnz .LBB65_46
; %bb.45:
	v_mul_lo_u32 v3, s3, v4
	v_mul_lo_u32 v10, s2, v5
	v_mad_u64_u32 v[4:5], s[8:9], s2, v4, 0
	v_add3_u32 v5, v5, v10, v3
	v_lshl_add_u64 v[4:5], v[4:5], 2, v[6:7]
	global_store_dword v[4:5], v0, off
.LBB65_46:
	s_or_b64 exec, exec, s[6:7]
	v_cmp_gt_i32_e32 vcc, s15, v2
	s_and_b64 exec, exec, vcc
	s_cbranch_execz .LBB65_53
; %bb.47:
	v_cndmask_b32_e64 v0, 0, 1, s[4:5]
	s_andn2_b64 vcc, exec, s[0:1]
	v_ashrrev_i32_e32 v3, 31, v2
	v_cmp_ne_u32_e64 s[0:1], 1, v0
	s_cbranch_vccnz .LBB65_54
; %bb.48:
	s_and_b64 vcc, exec, s[0:1]
	s_mov_b64 s[4:5], -1
	s_cbranch_vccnz .LBB65_50
; %bb.49:
	v_lshl_add_u64 v[4:5], v[2:3], 2, v[8:9]
	global_load_dword v10, v[4:5], off
	v_mul_lo_u32 v0, v1, s33
	s_waitcnt vmcnt(0)
	v_mad_u64_u32 v[10:11], s[4:5], v10, s38, v[0:1]
	s_mov_b64 s[4:5], 0
	global_store_dword v[4:5], v10, off
.LBB65_50:
	s_andn2_b64 vcc, exec, s[4:5]
	s_cbranch_vccnz .LBB65_52
; %bb.51:
	v_mul_lo_u32 v0, s3, v2
	v_mul_lo_u32 v10, s2, v3
	v_mad_u64_u32 v[4:5], s[4:5], s2, v2, 0
	v_add3_u32 v5, v5, v10, v0
	v_lshl_add_u64 v[4:5], v[4:5], 2, v[6:7]
	global_load_dword v10, v[4:5], off
	v_mul_lo_u32 v0, v1, s33
	s_waitcnt vmcnt(0)
	v_mad_u64_u32 v[10:11], s[4:5], v10, s38, v[0:1]
	global_store_dword v[4:5], v10, off
.LBB65_52:
	s_cbranch_execz .LBB65_55
.LBB65_53:
	s_endpgm
.LBB65_54:
.LBB65_55:
	v_mul_lo_u32 v0, v1, s33
	s_and_b64 vcc, exec, s[0:1]
	s_mov_b64 s[0:1], -1
	s_cbranch_vccnz .LBB65_57
; %bb.56:
	v_lshl_add_u64 v[4:5], v[2:3], 2, v[8:9]
	s_mov_b64 s[0:1], 0
	global_store_dword v[4:5], v0, off
.LBB65_57:
	s_andn2_b64 vcc, exec, s[0:1]
	s_cbranch_vccnz .LBB65_53
; %bb.58:
	v_mul_lo_u32 v1, s3, v2
	v_mul_lo_u32 v4, s2, v3
	v_mad_u64_u32 v[2:3], s[0:1], s2, v2, 0
	v_add3_u32 v3, v3, v4, v1
	v_lshl_add_u64 v[2:3], v[2:3], 2, v[6:7]
	global_store_dword v[2:3], v0, off
	s_endpgm
	.section	.rodata,"a",@progbits
	.p2align	6, 0x0
	.amdhsa_kernel _ZN9rocsparseL31bsrmm_large_blockdim_kernel_extILj4ELj16ELj2EliaaiiEEvb20rocsparse_direction_T3_S2_llNS_24const_host_device_scalarIT7_EEPKT2_PKS2_PKT4_S2_PKT5_llS5_PT6_ll16rocsparse_order_21rocsparse_index_base_b
		.amdhsa_group_segment_fixed_size 576
		.amdhsa_private_segment_fixed_size 0
		.amdhsa_kernarg_size 140
		.amdhsa_user_sgpr_count 2
		.amdhsa_user_sgpr_dispatch_ptr 0
		.amdhsa_user_sgpr_queue_ptr 0
		.amdhsa_user_sgpr_kernarg_segment_ptr 1
		.amdhsa_user_sgpr_dispatch_id 0
		.amdhsa_user_sgpr_kernarg_preload_length 0
		.amdhsa_user_sgpr_kernarg_preload_offset 0
		.amdhsa_user_sgpr_private_segment_size 0
		.amdhsa_uses_dynamic_stack 0
		.amdhsa_enable_private_segment 0
		.amdhsa_system_sgpr_workgroup_id_x 1
		.amdhsa_system_sgpr_workgroup_id_y 1
		.amdhsa_system_sgpr_workgroup_id_z 0
		.amdhsa_system_sgpr_workgroup_info 0
		.amdhsa_system_vgpr_workitem_id 1
		.amdhsa_next_free_vgpr 26
		.amdhsa_next_free_sgpr 42
		.amdhsa_accum_offset 28
		.amdhsa_reserve_vcc 1
		.amdhsa_float_round_mode_32 0
		.amdhsa_float_round_mode_16_64 0
		.amdhsa_float_denorm_mode_32 3
		.amdhsa_float_denorm_mode_16_64 3
		.amdhsa_dx10_clamp 1
		.amdhsa_ieee_mode 1
		.amdhsa_fp16_overflow 0
		.amdhsa_tg_split 0
		.amdhsa_exception_fp_ieee_invalid_op 0
		.amdhsa_exception_fp_denorm_src 0
		.amdhsa_exception_fp_ieee_div_zero 0
		.amdhsa_exception_fp_ieee_overflow 0
		.amdhsa_exception_fp_ieee_underflow 0
		.amdhsa_exception_fp_ieee_inexact 0
		.amdhsa_exception_int_div_zero 0
	.end_amdhsa_kernel
	.section	.text._ZN9rocsparseL31bsrmm_large_blockdim_kernel_extILj4ELj16ELj2EliaaiiEEvb20rocsparse_direction_T3_S2_llNS_24const_host_device_scalarIT7_EEPKT2_PKS2_PKT4_S2_PKT5_llS5_PT6_ll16rocsparse_order_21rocsparse_index_base_b,"axG",@progbits,_ZN9rocsparseL31bsrmm_large_blockdim_kernel_extILj4ELj16ELj2EliaaiiEEvb20rocsparse_direction_T3_S2_llNS_24const_host_device_scalarIT7_EEPKT2_PKS2_PKT4_S2_PKT5_llS5_PT6_ll16rocsparse_order_21rocsparse_index_base_b,comdat
.Lfunc_end65:
	.size	_ZN9rocsparseL31bsrmm_large_blockdim_kernel_extILj4ELj16ELj2EliaaiiEEvb20rocsparse_direction_T3_S2_llNS_24const_host_device_scalarIT7_EEPKT2_PKS2_PKT4_S2_PKT5_llS5_PT6_ll16rocsparse_order_21rocsparse_index_base_b, .Lfunc_end65-_ZN9rocsparseL31bsrmm_large_blockdim_kernel_extILj4ELj16ELj2EliaaiiEEvb20rocsparse_direction_T3_S2_llNS_24const_host_device_scalarIT7_EEPKT2_PKS2_PKT4_S2_PKT5_llS5_PT6_ll16rocsparse_order_21rocsparse_index_base_b
                                        ; -- End function
	.set _ZN9rocsparseL31bsrmm_large_blockdim_kernel_extILj4ELj16ELj2EliaaiiEEvb20rocsparse_direction_T3_S2_llNS_24const_host_device_scalarIT7_EEPKT2_PKS2_PKT4_S2_PKT5_llS5_PT6_ll16rocsparse_order_21rocsparse_index_base_b.num_vgpr, 26
	.set _ZN9rocsparseL31bsrmm_large_blockdim_kernel_extILj4ELj16ELj2EliaaiiEEvb20rocsparse_direction_T3_S2_llNS_24const_host_device_scalarIT7_EEPKT2_PKS2_PKT4_S2_PKT5_llS5_PT6_ll16rocsparse_order_21rocsparse_index_base_b.num_agpr, 0
	.set _ZN9rocsparseL31bsrmm_large_blockdim_kernel_extILj4ELj16ELj2EliaaiiEEvb20rocsparse_direction_T3_S2_llNS_24const_host_device_scalarIT7_EEPKT2_PKS2_PKT4_S2_PKT5_llS5_PT6_ll16rocsparse_order_21rocsparse_index_base_b.numbered_sgpr, 42
	.set _ZN9rocsparseL31bsrmm_large_blockdim_kernel_extILj4ELj16ELj2EliaaiiEEvb20rocsparse_direction_T3_S2_llNS_24const_host_device_scalarIT7_EEPKT2_PKS2_PKT4_S2_PKT5_llS5_PT6_ll16rocsparse_order_21rocsparse_index_base_b.num_named_barrier, 0
	.set _ZN9rocsparseL31bsrmm_large_blockdim_kernel_extILj4ELj16ELj2EliaaiiEEvb20rocsparse_direction_T3_S2_llNS_24const_host_device_scalarIT7_EEPKT2_PKS2_PKT4_S2_PKT5_llS5_PT6_ll16rocsparse_order_21rocsparse_index_base_b.private_seg_size, 0
	.set _ZN9rocsparseL31bsrmm_large_blockdim_kernel_extILj4ELj16ELj2EliaaiiEEvb20rocsparse_direction_T3_S2_llNS_24const_host_device_scalarIT7_EEPKT2_PKS2_PKT4_S2_PKT5_llS5_PT6_ll16rocsparse_order_21rocsparse_index_base_b.uses_vcc, 1
	.set _ZN9rocsparseL31bsrmm_large_blockdim_kernel_extILj4ELj16ELj2EliaaiiEEvb20rocsparse_direction_T3_S2_llNS_24const_host_device_scalarIT7_EEPKT2_PKS2_PKT4_S2_PKT5_llS5_PT6_ll16rocsparse_order_21rocsparse_index_base_b.uses_flat_scratch, 0
	.set _ZN9rocsparseL31bsrmm_large_blockdim_kernel_extILj4ELj16ELj2EliaaiiEEvb20rocsparse_direction_T3_S2_llNS_24const_host_device_scalarIT7_EEPKT2_PKS2_PKT4_S2_PKT5_llS5_PT6_ll16rocsparse_order_21rocsparse_index_base_b.has_dyn_sized_stack, 0
	.set _ZN9rocsparseL31bsrmm_large_blockdim_kernel_extILj4ELj16ELj2EliaaiiEEvb20rocsparse_direction_T3_S2_llNS_24const_host_device_scalarIT7_EEPKT2_PKS2_PKT4_S2_PKT5_llS5_PT6_ll16rocsparse_order_21rocsparse_index_base_b.has_recursion, 0
	.set _ZN9rocsparseL31bsrmm_large_blockdim_kernel_extILj4ELj16ELj2EliaaiiEEvb20rocsparse_direction_T3_S2_llNS_24const_host_device_scalarIT7_EEPKT2_PKS2_PKT4_S2_PKT5_llS5_PT6_ll16rocsparse_order_21rocsparse_index_base_b.has_indirect_call, 0
	.section	.AMDGPU.csdata,"",@progbits
; Kernel info:
; codeLenInByte = 1784
; TotalNumSgprs: 48
; NumVgprs: 26
; NumAgprs: 0
; TotalNumVgprs: 26
; ScratchSize: 0
; MemoryBound: 0
; FloatMode: 240
; IeeeMode: 1
; LDSByteSize: 576 bytes/workgroup (compile time only)
; SGPRBlocks: 5
; VGPRBlocks: 3
; NumSGPRsForWavesPerEU: 48
; NumVGPRsForWavesPerEU: 26
; AccumOffset: 28
; Occupancy: 8
; WaveLimiterHint : 1
; COMPUTE_PGM_RSRC2:SCRATCH_EN: 0
; COMPUTE_PGM_RSRC2:USER_SGPR: 2
; COMPUTE_PGM_RSRC2:TRAP_HANDLER: 0
; COMPUTE_PGM_RSRC2:TGID_X_EN: 1
; COMPUTE_PGM_RSRC2:TGID_Y_EN: 1
; COMPUTE_PGM_RSRC2:TGID_Z_EN: 0
; COMPUTE_PGM_RSRC2:TIDIG_COMP_CNT: 1
; COMPUTE_PGM_RSRC3_GFX90A:ACCUM_OFFSET: 6
; COMPUTE_PGM_RSRC3_GFX90A:TG_SPLIT: 0
	.section	.text._ZN9rocsparseL31bsrmm_large_blockdim_kernel_extILj16ELj16ELj2EliaaiiEEvb20rocsparse_direction_T3_S2_llNS_24const_host_device_scalarIT7_EEPKT2_PKS2_PKT4_S2_PKT5_llS5_PT6_ll16rocsparse_order_21rocsparse_index_base_b,"axG",@progbits,_ZN9rocsparseL31bsrmm_large_blockdim_kernel_extILj16ELj16ELj2EliaaiiEEvb20rocsparse_direction_T3_S2_llNS_24const_host_device_scalarIT7_EEPKT2_PKS2_PKT4_S2_PKT5_llS5_PT6_ll16rocsparse_order_21rocsparse_index_base_b,comdat
	.globl	_ZN9rocsparseL31bsrmm_large_blockdim_kernel_extILj16ELj16ELj2EliaaiiEEvb20rocsparse_direction_T3_S2_llNS_24const_host_device_scalarIT7_EEPKT2_PKS2_PKT4_S2_PKT5_llS5_PT6_ll16rocsparse_order_21rocsparse_index_base_b ; -- Begin function _ZN9rocsparseL31bsrmm_large_blockdim_kernel_extILj16ELj16ELj2EliaaiiEEvb20rocsparse_direction_T3_S2_llNS_24const_host_device_scalarIT7_EEPKT2_PKS2_PKT4_S2_PKT5_llS5_PT6_ll16rocsparse_order_21rocsparse_index_base_b
	.p2align	8
	.type	_ZN9rocsparseL31bsrmm_large_blockdim_kernel_extILj16ELj16ELj2EliaaiiEEvb20rocsparse_direction_T3_S2_llNS_24const_host_device_scalarIT7_EEPKT2_PKS2_PKT4_S2_PKT5_llS5_PT6_ll16rocsparse_order_21rocsparse_index_base_b,@function
_ZN9rocsparseL31bsrmm_large_blockdim_kernel_extILj16ELj16ELj2EliaaiiEEvb20rocsparse_direction_T3_S2_llNS_24const_host_device_scalarIT7_EEPKT2_PKS2_PKT4_S2_PKT5_llS5_PT6_ll16rocsparse_order_21rocsparse_index_base_b: ; @_ZN9rocsparseL31bsrmm_large_blockdim_kernel_extILj16ELj16ELj2EliaaiiEEvb20rocsparse_direction_T3_S2_llNS_24const_host_device_scalarIT7_EEPKT2_PKS2_PKT4_S2_PKT5_llS5_PT6_ll16rocsparse_order_21rocsparse_index_base_b
; %bb.0:
	s_load_dwordx4 s[16:19], s[0:1], 0x80
	s_load_dwordx2 s[10:11], s[0:1], 0x20
	s_mov_b32 s4, s3
	s_mov_b64 s[12:13], -1
                                        ; implicit-def: $sgpr33
	s_waitcnt lgkmcnt(0)
	s_bitcmp1_b32 s18, 0
	s_cselect_b64 s[6:7], -1, 0
	s_xor_b64 s[8:9], s[6:7], -1
	s_and_b64 vcc, exec, s[8:9]
	s_cbranch_vccnz .LBB66_4
; %bb.1:
	s_load_dwordx2 s[6:7], s[0:1], 0x60
	s_andn2_b64 vcc, exec, s[12:13]
	s_cbranch_vccz .LBB66_5
.LBB66_2:
	s_and_b64 vcc, exec, s[8:9]
	s_cbranch_vccz .LBB66_6
.LBB66_3:
	s_waitcnt lgkmcnt(0)
	s_load_dword s38, s[6:7], 0x0
	s_cbranch_execz .LBB66_7
	s_branch .LBB66_8
.LBB66_4:
	s_load_dword s33, s[10:11], 0x0
	s_load_dwordx2 s[6:7], s[0:1], 0x60
	s_cbranch_execnz .LBB66_2
.LBB66_5:
	s_waitcnt lgkmcnt(0)
	s_mov_b32 s33, s10
	s_and_b64 vcc, exec, s[8:9]
	s_cbranch_vccnz .LBB66_3
.LBB66_6:
                                        ; implicit-def: $sgpr38
.LBB66_7:
	s_waitcnt lgkmcnt(0)
	s_mov_b32 s38, s6
.LBB66_8:
	s_waitcnt lgkmcnt(0)
	s_cmp_eq_u32 s33, 0
	s_cselect_b64 s[6:7], -1, 0
	s_cmp_eq_u32 s38, 1
	s_cselect_b64 s[8:9], -1, 0
	s_and_b64 s[6:7], s[6:7], s[8:9]
	s_and_b64 vcc, exec, s[6:7]
	s_cbranch_vccnz .LBB66_53
; %bb.9:
	s_load_dwordx4 s[12:15], s[0:1], 0x0
	s_load_dwordx2 s[6:7], s[0:1], 0x28
	s_mov_b64 s[30:31], 0
	s_mov_b64 s[34:35], 0
	s_waitcnt lgkmcnt(0)
	s_cmp_lt_i32 s2, s14
	s_cselect_b64 s[18:19], -1, 0
	s_cmp_ge_i32 s2, s14
	s_cbranch_scc1 .LBB66_11
; %bb.10:
	s_ashr_i32 s3, s2, 31
	s_lshl_b64 s[8:9], s[2:3], 3
	s_add_u32 s8, s6, s8
	s_addc_u32 s9, s7, s9
	s_load_dwordx2 s[8:9], s[8:9], 0x0
	s_waitcnt lgkmcnt(0)
	s_sub_u32 s34, s8, s17
	s_subb_u32 s35, s9, 0
.LBB66_11:
	s_andn2_b64 vcc, exec, s[18:19]
	s_cbranch_vccnz .LBB66_13
; %bb.12:
	s_ashr_i32 s3, s2, 31
	s_lshl_b64 s[8:9], s[2:3], 3
	s_add_u32 s6, s6, s8
	s_addc_u32 s7, s7, s9
	s_load_dwordx2 s[6:7], s[6:7], 0x8
	s_waitcnt lgkmcnt(0)
	s_sub_u32 s30, s6, s17
	s_subb_u32 s31, s7, 0
.LBB66_13:
	s_load_dwordx2 s[28:29], s[0:1], 0x68
	s_load_dword s3, s[0:1], 0x40
	v_bfe_u32 v8, v0, 10, 10
	v_lshl_add_u32 v4, s4, 5, v8
	v_and_b32_e32 v6, 0x3ff, v0
	v_mov_b64_e32 v[0:1], s[30:31]
	v_add_u32_e32 v2, 16, v4
	v_cmp_ge_i64_e32 vcc, s[34:35], v[0:1]
	s_waitcnt lgkmcnt(0)
	v_cmp_gt_i32_e64 s[4:5], s3, v6
	v_cmp_gt_i32_e64 s[6:7], s15, v4
	;; [unrolled: 1-line block ×3, first 2 shown]
	s_cbranch_vccnz .LBB66_32
; %bb.14:
	s_load_dwordx4 s[20:23], s[0:1], 0x30
	s_load_dwordx4 s[24:27], s[0:1], 0x48
	v_mov_b32_e32 v0, 0x800
	v_cmp_gt_i32_e32 vcc, s3, v8
	v_lshl_add_u32 v16, v8, 2, v0
	v_mul_lo_u32 v0, s3, v8
	v_mov_b32_e32 v1, 0
	s_and_b64 s[36:37], s[4:5], vcc
	v_mov_b32_e32 v7, v1
	s_waitcnt lgkmcnt(0)
	v_lshl_add_u64 v[10:11], s[22:23], 0, v[0:1]
	v_mul_lo_u32 v0, s3, v6
	s_bitcmp1_b32 s12, 0
	v_lshl_add_u64 v[12:13], v[10:11], 0, v[6:7]
	v_mov_b32_e32 v9, v1
	v_lshl_add_u64 v[10:11], s[22:23], 0, v[0:1]
	v_ashrrev_i32_e32 v5, 31, v4
	s_cselect_b64 s[10:11], -1, 0
	v_lshlrev_b32_e32 v18, 6, v8
	s_cmp_eq_u32 s13, 0
	v_lshl_add_u64 v[14:15], v[10:11], 0, v[8:9]
	v_mul_lo_u32 v0, s27, v4
	v_mul_lo_u32 v3, s26, v5
	v_mad_u64_u32 v[8:9], s[12:13], s26, v4, 0
	v_add3_u32 v9, v9, v3, v0
	v_ashrrev_i32_e32 v3, 31, v2
	v_lshlrev_b32_e32 v17, 2, v6
	v_lshlrev_b32_e32 v21, 6, v6
	v_mul_lo_u32 v0, s27, v2
	v_mul_lo_u32 v7, s26, v3
	v_mad_u64_u32 v[10:11], s[12:13], s26, v2, 0
	s_cselect_b64 vcc, -1, 0
	s_mul_i32 s14, s3, s3
	v_add3_u32 v11, v11, v7, v0
	v_cndmask_b32_e32 v13, v13, v15, vcc
	v_cndmask_b32_e32 v12, v12, v14, vcc
	v_add_u32_e32 v7, 0x800, v21
	v_add_u32_e32 v19, 0x400, v18
	v_mov_b32_e32 v0, v1
	v_add_u32_e32 v20, v17, v18
	v_add_u32_e32 v21, v16, v21
	s_branch .LBB66_17
.LBB66_15:                              ;   in Loop: Header=BB66_17 Depth=1
	s_or_b64 exec, exec, s[22:23]
.LBB66_16:                              ;   in Loop: Header=BB66_17 Depth=1
	s_or_b64 exec, exec, s[12:13]
	s_add_u32 s34, s34, 1
	s_addc_u32 s35, s35, 0
	v_mov_b64_e32 v[14:15], s[30:31]
	v_cmp_ge_i64_e32 vcc, s[34:35], v[14:15]
	s_barrier
	s_cbranch_vccnz .LBB66_33
.LBB66_17:                              ; =>This Loop Header: Depth=1
                                        ;     Child Loop BB66_27 Depth 2
                                        ;     Child Loop BB66_31 Depth 2
	s_and_saveexec_b64 s[12:13], s[4:5]
	s_cbranch_execz .LBB66_22
; %bb.18:                               ;   in Loop: Header=BB66_17 Depth=1
	s_lshl_b64 s[22:23], s[34:35], 2
	s_add_u32 s22, s20, s22
	s_addc_u32 s23, s21, s23
	s_load_dword s22, s[22:23], 0x0
	v_mov_b64_e32 v[14:15], s[24:25]
	s_waitcnt lgkmcnt(0)
	s_sub_i32 s22, s22, s17
	s_mul_i32 s22, s22, s3
	v_add_u32_e32 v16, s22, v6
	v_ashrrev_i32_e32 v17, 31, v16
	v_mul_lo_u32 v22, s27, v16
	v_mad_u64_u32 v[14:15], s[22:23], s26, v16, v[14:15]
	v_mul_lo_u32 v23, s26, v17
	v_add3_u32 v15, v22, v15, v23
	v_lshl_add_u64 v[16:17], s[24:25], 0, v[16:17]
	s_and_saveexec_b64 s[22:23], s[6:7]
	s_cbranch_execz .LBB66_20
; %bb.19:                               ;   in Loop: Header=BB66_17 Depth=1
	v_lshl_add_u64 v[22:23], v[14:15], 0, v[4:5]
	v_lshl_add_u64 v[24:25], v[16:17], 0, v[8:9]
	v_cndmask_b32_e64 v23, v23, v25, s[10:11]
	v_cndmask_b32_e64 v22, v22, v24, s[10:11]
	global_load_sbyte v22, v[22:23], off
	s_waitcnt vmcnt(0)
	ds_write_b32 v20, v22
.LBB66_20:                              ;   in Loop: Header=BB66_17 Depth=1
	s_or_b64 exec, exec, s[22:23]
	s_and_b64 exec, exec, s[8:9]
	s_cbranch_execz .LBB66_22
; %bb.21:                               ;   in Loop: Header=BB66_17 Depth=1
	v_lshl_add_u64 v[16:17], v[16:17], 0, v[10:11]
	v_lshl_add_u64 v[14:15], v[14:15], 0, v[2:3]
	v_cndmask_b32_e64 v15, v15, v17, s[10:11]
	v_cndmask_b32_e64 v14, v14, v16, s[10:11]
	global_load_sbyte v14, v[14:15], off
	s_waitcnt vmcnt(0)
	ds_write_b32 v20, v14 offset:1024
.LBB66_22:                              ;   in Loop: Header=BB66_17 Depth=1
	s_or_b64 exec, exec, s[12:13]
	s_and_saveexec_b64 s[12:13], s[36:37]
	s_cbranch_execz .LBB66_24
; %bb.23:                               ;   in Loop: Header=BB66_17 Depth=1
	v_mov_b32_e32 v14, s14
	v_mad_u64_u32 v[14:15], s[22:23], s34, v14, v[12:13]
	s_mul_i32 s22, s35, s14
	s_nop 0
	v_add_u32_e32 v15, s22, v15
	global_load_sbyte v14, v[14:15], off
	s_waitcnt vmcnt(0)
	ds_write_b32 v21, v14
.LBB66_24:                              ;   in Loop: Header=BB66_17 Depth=1
	s_or_b64 exec, exec, s[12:13]
	s_waitcnt lgkmcnt(0)
	s_barrier
	s_and_saveexec_b64 s[12:13], s[4:5]
	s_cbranch_execz .LBB66_16
; %bb.25:                               ;   in Loop: Header=BB66_17 Depth=1
	s_and_saveexec_b64 s[22:23], s[6:7]
	s_cbranch_execz .LBB66_29
; %bb.26:                               ;   in Loop: Header=BB66_17 Depth=1
	v_mov_b32_e32 v16, v7
	v_mov_b32_e32 v17, v18
	s_mov_b32 s39, s3
.LBB66_27:                              ;   Parent Loop BB66_17 Depth=1
                                        ; =>  This Inner Loop Header: Depth=2
	ds_read_b32 v14, v16
	ds_read_b32 v15, v17
	s_add_i32 s39, s39, -1
	v_add_u32_e32 v17, 4, v17
	v_add_u32_e32 v16, 4, v16
	s_cmp_lg_u32 s39, 0
	s_waitcnt lgkmcnt(0)
	v_mad_u64_u32 v[14:15], s[40:41], v15, v14, v[0:1]
	v_mov_b32_e32 v15, v1
	v_mov_b64_e32 v[0:1], v[14:15]
	s_cbranch_scc1 .LBB66_27
; %bb.28:                               ;   in Loop: Header=BB66_17 Depth=1
	v_mov_b64_e32 v[0:1], v[14:15]
.LBB66_29:                              ;   in Loop: Header=BB66_17 Depth=1
	s_or_b64 exec, exec, s[22:23]
	s_and_saveexec_b64 s[22:23], s[8:9]
	s_cbranch_execz .LBB66_15
; %bb.30:                               ;   in Loop: Header=BB66_17 Depth=1
	v_mov_b32_e32 v14, v7
	s_mov_b32 s39, s3
	v_mov_b32_e32 v15, v19
.LBB66_31:                              ;   Parent Loop BB66_17 Depth=1
                                        ; =>  This Inner Loop Header: Depth=2
	ds_read_b32 v17, v14
	ds_read_b32 v22, v15
	v_mov_b32_e32 v16, v1
	s_add_i32 s39, s39, -1
	v_add_u32_e32 v15, 4, v15
	v_add_u32_e32 v14, 4, v14
	s_waitcnt lgkmcnt(0)
	v_mad_u64_u32 v[16:17], s[40:41], v22, v17, v[16:17]
	s_cmp_lg_u32 s39, 0
	v_mov_b32_e32 v1, v16
	s_cbranch_scc1 .LBB66_31
	s_branch .LBB66_15
.LBB66_32:
	v_mov_b32_e32 v0, 0
	v_mov_b32_e32 v1, v0
.LBB66_33:
	s_and_b64 s[4:5], s[18:19], s[4:5]
	s_and_saveexec_b64 s[6:7], s[4:5]
	s_cbranch_execz .LBB66_53
; %bb.34:
	s_mul_i32 s2, s3, s2
	v_add_u32_e32 v6, s2, v6
	s_load_dwordx2 s[2:3], s[0:1], 0x70
	v_ashrrev_i32_e32 v7, 31, v6
	s_cmp_lg_u32 s38, 0
	s_cselect_b64 s[0:1], -1, 0
	s_cmp_lg_u32 s16, 1
	s_waitcnt lgkmcnt(0)
	v_mul_lo_u32 v3, s2, v7
	v_mul_lo_u32 v5, s3, v6
	v_mad_u64_u32 v[8:9], s[6:7], s2, v6, 0
	v_add3_u32 v9, v9, v3, v5
	s_cselect_b64 s[4:5], -1, 0
	v_lshl_add_u64 v[8:9], v[8:9], 2, s[28:29]
	v_lshl_add_u64 v[6:7], v[6:7], 2, s[28:29]
	v_cmp_gt_i32_e32 vcc, s15, v4
	s_and_saveexec_b64 s[6:7], vcc
	s_cbranch_execz .LBB66_46
; %bb.35:
	s_and_b64 vcc, exec, s[0:1]
	v_ashrrev_i32_e32 v5, 31, v4
	s_mov_b64 s[8:9], -1
	s_cbranch_vccz .LBB66_41
; %bb.36:
	s_and_b64 vcc, exec, s[4:5]
	s_cbranch_vccz .LBB66_38
; %bb.37:
	v_lshl_add_u64 v[10:11], v[4:5], 2, v[8:9]
	global_load_dword v3, v[10:11], off
	v_mul_lo_u32 v12, v0, s33
	s_waitcnt vmcnt(0)
	v_mad_u64_u32 v[12:13], s[8:9], v3, s38, v[12:13]
	global_store_dword v[10:11], v12, off
	s_mov_b64 s[8:9], 0
.LBB66_38:
	s_andn2_b64 vcc, exec, s[8:9]
	s_cbranch_vccnz .LBB66_40
; %bb.39:
	v_mul_lo_u32 v3, s3, v4
	v_mul_lo_u32 v12, s2, v5
	v_mad_u64_u32 v[10:11], s[8:9], s2, v4, 0
	v_add3_u32 v11, v11, v12, v3
	v_lshl_add_u64 v[10:11], v[10:11], 2, v[6:7]
	global_load_dword v3, v[10:11], off
	v_mul_lo_u32 v12, v0, s33
	s_waitcnt vmcnt(0)
	v_mad_u64_u32 v[12:13], s[8:9], v3, s38, v[12:13]
	global_store_dword v[10:11], v12, off
.LBB66_40:
	s_mov_b64 s[8:9], 0
.LBB66_41:
	s_andn2_b64 vcc, exec, s[8:9]
	s_cbranch_vccnz .LBB66_46
; %bb.42:
	v_mul_lo_u32 v0, v0, s33
	s_mov_b64 s[8:9], -1
	s_and_b64 vcc, exec, s[4:5]
	s_cbranch_vccz .LBB66_44
; %bb.43:
	v_lshl_add_u64 v[10:11], v[4:5], 2, v[8:9]
	global_store_dword v[10:11], v0, off
	s_mov_b64 s[8:9], 0
.LBB66_44:
	s_andn2_b64 vcc, exec, s[8:9]
	s_cbranch_vccnz .LBB66_46
; %bb.45:
	v_mul_lo_u32 v3, s3, v4
	v_mul_lo_u32 v10, s2, v5
	v_mad_u64_u32 v[4:5], s[8:9], s2, v4, 0
	v_add3_u32 v5, v5, v10, v3
	v_lshl_add_u64 v[4:5], v[4:5], 2, v[6:7]
	global_store_dword v[4:5], v0, off
.LBB66_46:
	s_or_b64 exec, exec, s[6:7]
	v_cmp_gt_i32_e32 vcc, s15, v2
	s_and_b64 exec, exec, vcc
	s_cbranch_execz .LBB66_53
; %bb.47:
	v_cndmask_b32_e64 v0, 0, 1, s[4:5]
	s_andn2_b64 vcc, exec, s[0:1]
	v_ashrrev_i32_e32 v3, 31, v2
	v_cmp_ne_u32_e64 s[0:1], 1, v0
	s_cbranch_vccnz .LBB66_54
; %bb.48:
	s_and_b64 vcc, exec, s[0:1]
	s_mov_b64 s[4:5], -1
	s_cbranch_vccnz .LBB66_50
; %bb.49:
	v_lshl_add_u64 v[4:5], v[2:3], 2, v[8:9]
	global_load_dword v10, v[4:5], off
	v_mul_lo_u32 v0, v1, s33
	s_waitcnt vmcnt(0)
	v_mad_u64_u32 v[10:11], s[4:5], v10, s38, v[0:1]
	s_mov_b64 s[4:5], 0
	global_store_dword v[4:5], v10, off
.LBB66_50:
	s_andn2_b64 vcc, exec, s[4:5]
	s_cbranch_vccnz .LBB66_52
; %bb.51:
	v_mul_lo_u32 v0, s3, v2
	v_mul_lo_u32 v10, s2, v3
	v_mad_u64_u32 v[4:5], s[4:5], s2, v2, 0
	v_add3_u32 v5, v5, v10, v0
	v_lshl_add_u64 v[4:5], v[4:5], 2, v[6:7]
	global_load_dword v10, v[4:5], off
	v_mul_lo_u32 v0, v1, s33
	s_waitcnt vmcnt(0)
	v_mad_u64_u32 v[10:11], s[4:5], v10, s38, v[0:1]
	global_store_dword v[4:5], v10, off
.LBB66_52:
	s_cbranch_execz .LBB66_55
.LBB66_53:
	s_endpgm
.LBB66_54:
.LBB66_55:
	v_mul_lo_u32 v0, v1, s33
	s_and_b64 vcc, exec, s[0:1]
	s_mov_b64 s[0:1], -1
	s_cbranch_vccnz .LBB66_57
; %bb.56:
	v_lshl_add_u64 v[4:5], v[2:3], 2, v[8:9]
	s_mov_b64 s[0:1], 0
	global_store_dword v[4:5], v0, off
.LBB66_57:
	s_andn2_b64 vcc, exec, s[0:1]
	s_cbranch_vccnz .LBB66_53
; %bb.58:
	v_mul_lo_u32 v1, s3, v2
	v_mul_lo_u32 v4, s2, v3
	v_mad_u64_u32 v[2:3], s[0:1], s2, v2, 0
	v_add3_u32 v3, v3, v4, v1
	v_lshl_add_u64 v[2:3], v[2:3], 2, v[6:7]
	global_store_dword v[2:3], v0, off
	s_endpgm
	.section	.rodata,"a",@progbits
	.p2align	6, 0x0
	.amdhsa_kernel _ZN9rocsparseL31bsrmm_large_blockdim_kernel_extILj16ELj16ELj2EliaaiiEEvb20rocsparse_direction_T3_S2_llNS_24const_host_device_scalarIT7_EEPKT2_PKS2_PKT4_S2_PKT5_llS5_PT6_ll16rocsparse_order_21rocsparse_index_base_b
		.amdhsa_group_segment_fixed_size 3072
		.amdhsa_private_segment_fixed_size 0
		.amdhsa_kernarg_size 140
		.amdhsa_user_sgpr_count 2
		.amdhsa_user_sgpr_dispatch_ptr 0
		.amdhsa_user_sgpr_queue_ptr 0
		.amdhsa_user_sgpr_kernarg_segment_ptr 1
		.amdhsa_user_sgpr_dispatch_id 0
		.amdhsa_user_sgpr_kernarg_preload_length 0
		.amdhsa_user_sgpr_kernarg_preload_offset 0
		.amdhsa_user_sgpr_private_segment_size 0
		.amdhsa_uses_dynamic_stack 0
		.amdhsa_enable_private_segment 0
		.amdhsa_system_sgpr_workgroup_id_x 1
		.amdhsa_system_sgpr_workgroup_id_y 1
		.amdhsa_system_sgpr_workgroup_id_z 0
		.amdhsa_system_sgpr_workgroup_info 0
		.amdhsa_system_vgpr_workitem_id 1
		.amdhsa_next_free_vgpr 26
		.amdhsa_next_free_sgpr 42
		.amdhsa_accum_offset 28
		.amdhsa_reserve_vcc 1
		.amdhsa_float_round_mode_32 0
		.amdhsa_float_round_mode_16_64 0
		.amdhsa_float_denorm_mode_32 3
		.amdhsa_float_denorm_mode_16_64 3
		.amdhsa_dx10_clamp 1
		.amdhsa_ieee_mode 1
		.amdhsa_fp16_overflow 0
		.amdhsa_tg_split 0
		.amdhsa_exception_fp_ieee_invalid_op 0
		.amdhsa_exception_fp_denorm_src 0
		.amdhsa_exception_fp_ieee_div_zero 0
		.amdhsa_exception_fp_ieee_overflow 0
		.amdhsa_exception_fp_ieee_underflow 0
		.amdhsa_exception_fp_ieee_inexact 0
		.amdhsa_exception_int_div_zero 0
	.end_amdhsa_kernel
	.section	.text._ZN9rocsparseL31bsrmm_large_blockdim_kernel_extILj16ELj16ELj2EliaaiiEEvb20rocsparse_direction_T3_S2_llNS_24const_host_device_scalarIT7_EEPKT2_PKS2_PKT4_S2_PKT5_llS5_PT6_ll16rocsparse_order_21rocsparse_index_base_b,"axG",@progbits,_ZN9rocsparseL31bsrmm_large_blockdim_kernel_extILj16ELj16ELj2EliaaiiEEvb20rocsparse_direction_T3_S2_llNS_24const_host_device_scalarIT7_EEPKT2_PKS2_PKT4_S2_PKT5_llS5_PT6_ll16rocsparse_order_21rocsparse_index_base_b,comdat
.Lfunc_end66:
	.size	_ZN9rocsparseL31bsrmm_large_blockdim_kernel_extILj16ELj16ELj2EliaaiiEEvb20rocsparse_direction_T3_S2_llNS_24const_host_device_scalarIT7_EEPKT2_PKS2_PKT4_S2_PKT5_llS5_PT6_ll16rocsparse_order_21rocsparse_index_base_b, .Lfunc_end66-_ZN9rocsparseL31bsrmm_large_blockdim_kernel_extILj16ELj16ELj2EliaaiiEEvb20rocsparse_direction_T3_S2_llNS_24const_host_device_scalarIT7_EEPKT2_PKS2_PKT4_S2_PKT5_llS5_PT6_ll16rocsparse_order_21rocsparse_index_base_b
                                        ; -- End function
	.set _ZN9rocsparseL31bsrmm_large_blockdim_kernel_extILj16ELj16ELj2EliaaiiEEvb20rocsparse_direction_T3_S2_llNS_24const_host_device_scalarIT7_EEPKT2_PKS2_PKT4_S2_PKT5_llS5_PT6_ll16rocsparse_order_21rocsparse_index_base_b.num_vgpr, 26
	.set _ZN9rocsparseL31bsrmm_large_blockdim_kernel_extILj16ELj16ELj2EliaaiiEEvb20rocsparse_direction_T3_S2_llNS_24const_host_device_scalarIT7_EEPKT2_PKS2_PKT4_S2_PKT5_llS5_PT6_ll16rocsparse_order_21rocsparse_index_base_b.num_agpr, 0
	.set _ZN9rocsparseL31bsrmm_large_blockdim_kernel_extILj16ELj16ELj2EliaaiiEEvb20rocsparse_direction_T3_S2_llNS_24const_host_device_scalarIT7_EEPKT2_PKS2_PKT4_S2_PKT5_llS5_PT6_ll16rocsparse_order_21rocsparse_index_base_b.numbered_sgpr, 42
	.set _ZN9rocsparseL31bsrmm_large_blockdim_kernel_extILj16ELj16ELj2EliaaiiEEvb20rocsparse_direction_T3_S2_llNS_24const_host_device_scalarIT7_EEPKT2_PKS2_PKT4_S2_PKT5_llS5_PT6_ll16rocsparse_order_21rocsparse_index_base_b.num_named_barrier, 0
	.set _ZN9rocsparseL31bsrmm_large_blockdim_kernel_extILj16ELj16ELj2EliaaiiEEvb20rocsparse_direction_T3_S2_llNS_24const_host_device_scalarIT7_EEPKT2_PKS2_PKT4_S2_PKT5_llS5_PT6_ll16rocsparse_order_21rocsparse_index_base_b.private_seg_size, 0
	.set _ZN9rocsparseL31bsrmm_large_blockdim_kernel_extILj16ELj16ELj2EliaaiiEEvb20rocsparse_direction_T3_S2_llNS_24const_host_device_scalarIT7_EEPKT2_PKS2_PKT4_S2_PKT5_llS5_PT6_ll16rocsparse_order_21rocsparse_index_base_b.uses_vcc, 1
	.set _ZN9rocsparseL31bsrmm_large_blockdim_kernel_extILj16ELj16ELj2EliaaiiEEvb20rocsparse_direction_T3_S2_llNS_24const_host_device_scalarIT7_EEPKT2_PKS2_PKT4_S2_PKT5_llS5_PT6_ll16rocsparse_order_21rocsparse_index_base_b.uses_flat_scratch, 0
	.set _ZN9rocsparseL31bsrmm_large_blockdim_kernel_extILj16ELj16ELj2EliaaiiEEvb20rocsparse_direction_T3_S2_llNS_24const_host_device_scalarIT7_EEPKT2_PKS2_PKT4_S2_PKT5_llS5_PT6_ll16rocsparse_order_21rocsparse_index_base_b.has_dyn_sized_stack, 0
	.set _ZN9rocsparseL31bsrmm_large_blockdim_kernel_extILj16ELj16ELj2EliaaiiEEvb20rocsparse_direction_T3_S2_llNS_24const_host_device_scalarIT7_EEPKT2_PKS2_PKT4_S2_PKT5_llS5_PT6_ll16rocsparse_order_21rocsparse_index_base_b.has_recursion, 0
	.set _ZN9rocsparseL31bsrmm_large_blockdim_kernel_extILj16ELj16ELj2EliaaiiEEvb20rocsparse_direction_T3_S2_llNS_24const_host_device_scalarIT7_EEPKT2_PKS2_PKT4_S2_PKT5_llS5_PT6_ll16rocsparse_order_21rocsparse_index_base_b.has_indirect_call, 0
	.section	.AMDGPU.csdata,"",@progbits
; Kernel info:
; codeLenInByte = 1792
; TotalNumSgprs: 48
; NumVgprs: 26
; NumAgprs: 0
; TotalNumVgprs: 26
; ScratchSize: 0
; MemoryBound: 0
; FloatMode: 240
; IeeeMode: 1
; LDSByteSize: 3072 bytes/workgroup (compile time only)
; SGPRBlocks: 5
; VGPRBlocks: 3
; NumSGPRsForWavesPerEU: 48
; NumVGPRsForWavesPerEU: 26
; AccumOffset: 28
; Occupancy: 8
; WaveLimiterHint : 1
; COMPUTE_PGM_RSRC2:SCRATCH_EN: 0
; COMPUTE_PGM_RSRC2:USER_SGPR: 2
; COMPUTE_PGM_RSRC2:TRAP_HANDLER: 0
; COMPUTE_PGM_RSRC2:TGID_X_EN: 1
; COMPUTE_PGM_RSRC2:TGID_Y_EN: 1
; COMPUTE_PGM_RSRC2:TGID_Z_EN: 0
; COMPUTE_PGM_RSRC2:TIDIG_COMP_CNT: 1
; COMPUTE_PGM_RSRC3_GFX90A:ACCUM_OFFSET: 6
; COMPUTE_PGM_RSRC3_GFX90A:TG_SPLIT: 0
	.section	.text._ZN9rocsparseL31bsrmm_large_blockdim_kernel_extILj32ELj32ELj2EliaaiiEEvb20rocsparse_direction_T3_S2_llNS_24const_host_device_scalarIT7_EEPKT2_PKS2_PKT4_S2_PKT5_llS5_PT6_ll16rocsparse_order_21rocsparse_index_base_b,"axG",@progbits,_ZN9rocsparseL31bsrmm_large_blockdim_kernel_extILj32ELj32ELj2EliaaiiEEvb20rocsparse_direction_T3_S2_llNS_24const_host_device_scalarIT7_EEPKT2_PKS2_PKT4_S2_PKT5_llS5_PT6_ll16rocsparse_order_21rocsparse_index_base_b,comdat
	.globl	_ZN9rocsparseL31bsrmm_large_blockdim_kernel_extILj32ELj32ELj2EliaaiiEEvb20rocsparse_direction_T3_S2_llNS_24const_host_device_scalarIT7_EEPKT2_PKS2_PKT4_S2_PKT5_llS5_PT6_ll16rocsparse_order_21rocsparse_index_base_b ; -- Begin function _ZN9rocsparseL31bsrmm_large_blockdim_kernel_extILj32ELj32ELj2EliaaiiEEvb20rocsparse_direction_T3_S2_llNS_24const_host_device_scalarIT7_EEPKT2_PKS2_PKT4_S2_PKT5_llS5_PT6_ll16rocsparse_order_21rocsparse_index_base_b
	.p2align	8
	.type	_ZN9rocsparseL31bsrmm_large_blockdim_kernel_extILj32ELj32ELj2EliaaiiEEvb20rocsparse_direction_T3_S2_llNS_24const_host_device_scalarIT7_EEPKT2_PKS2_PKT4_S2_PKT5_llS5_PT6_ll16rocsparse_order_21rocsparse_index_base_b,@function
_ZN9rocsparseL31bsrmm_large_blockdim_kernel_extILj32ELj32ELj2EliaaiiEEvb20rocsparse_direction_T3_S2_llNS_24const_host_device_scalarIT7_EEPKT2_PKS2_PKT4_S2_PKT5_llS5_PT6_ll16rocsparse_order_21rocsparse_index_base_b: ; @_ZN9rocsparseL31bsrmm_large_blockdim_kernel_extILj32ELj32ELj2EliaaiiEEvb20rocsparse_direction_T3_S2_llNS_24const_host_device_scalarIT7_EEPKT2_PKS2_PKT4_S2_PKT5_llS5_PT6_ll16rocsparse_order_21rocsparse_index_base_b
; %bb.0:
	s_load_dwordx4 s[16:19], s[0:1], 0x80
	s_load_dwordx2 s[10:11], s[0:1], 0x20
	s_mov_b32 s4, s3
	s_mov_b64 s[12:13], -1
                                        ; implicit-def: $sgpr33
	s_waitcnt lgkmcnt(0)
	s_bitcmp1_b32 s18, 0
	s_cselect_b64 s[6:7], -1, 0
	s_xor_b64 s[8:9], s[6:7], -1
	s_and_b64 vcc, exec, s[8:9]
	s_cbranch_vccnz .LBB67_4
; %bb.1:
	s_load_dwordx2 s[6:7], s[0:1], 0x60
	s_andn2_b64 vcc, exec, s[12:13]
	s_cbranch_vccz .LBB67_5
.LBB67_2:
	s_and_b64 vcc, exec, s[8:9]
	s_cbranch_vccz .LBB67_6
.LBB67_3:
	s_waitcnt lgkmcnt(0)
	s_load_dword s38, s[6:7], 0x0
	s_cbranch_execz .LBB67_7
	s_branch .LBB67_8
.LBB67_4:
	s_load_dword s33, s[10:11], 0x0
	s_load_dwordx2 s[6:7], s[0:1], 0x60
	s_cbranch_execnz .LBB67_2
.LBB67_5:
	s_waitcnt lgkmcnt(0)
	s_mov_b32 s33, s10
	s_and_b64 vcc, exec, s[8:9]
	s_cbranch_vccnz .LBB67_3
.LBB67_6:
                                        ; implicit-def: $sgpr38
.LBB67_7:
	s_waitcnt lgkmcnt(0)
	s_mov_b32 s38, s6
.LBB67_8:
	s_waitcnt lgkmcnt(0)
	s_cmp_eq_u32 s33, 0
	s_cselect_b64 s[6:7], -1, 0
	s_cmp_eq_u32 s38, 1
	s_cselect_b64 s[8:9], -1, 0
	s_and_b64 s[6:7], s[6:7], s[8:9]
	s_and_b64 vcc, exec, s[6:7]
	s_cbranch_vccnz .LBB67_53
; %bb.9:
	s_load_dwordx4 s[12:15], s[0:1], 0x0
	s_load_dwordx2 s[6:7], s[0:1], 0x28
	s_mov_b64 s[36:37], 0
	s_mov_b64 s[30:31], 0
	s_waitcnt lgkmcnt(0)
	s_cmp_lt_i32 s2, s14
	s_cselect_b64 s[18:19], -1, 0
	s_cmp_ge_i32 s2, s14
	s_cbranch_scc1 .LBB67_11
; %bb.10:
	s_ashr_i32 s3, s2, 31
	s_lshl_b64 s[8:9], s[2:3], 3
	s_add_u32 s8, s6, s8
	s_addc_u32 s9, s7, s9
	s_load_dwordx2 s[8:9], s[8:9], 0x0
	s_waitcnt lgkmcnt(0)
	s_sub_u32 s30, s8, s17
	s_subb_u32 s31, s9, 0
.LBB67_11:
	s_andn2_b64 vcc, exec, s[18:19]
	s_cbranch_vccnz .LBB67_13
; %bb.12:
	s_ashr_i32 s3, s2, 31
	s_lshl_b64 s[8:9], s[2:3], 3
	s_add_u32 s6, s6, s8
	s_addc_u32 s7, s7, s9
	s_load_dwordx2 s[6:7], s[6:7], 0x8
	s_waitcnt lgkmcnt(0)
	s_sub_u32 s36, s6, s17
	s_subb_u32 s37, s7, 0
.LBB67_13:
	s_load_dwordx2 s[28:29], s[0:1], 0x68
	s_load_dword s3, s[0:1], 0x40
	v_bfe_u32 v8, v0, 10, 10
	v_lshl_add_u32 v4, s4, 6, v8
	v_and_b32_e32 v6, 0x3ff, v0
	v_mov_b64_e32 v[0:1], s[36:37]
	v_add_u32_e32 v2, 32, v4
	v_cmp_ge_i64_e32 vcc, s[30:31], v[0:1]
	s_waitcnt lgkmcnt(0)
	v_cmp_gt_i32_e64 s[4:5], s3, v6
	v_cmp_gt_i32_e64 s[6:7], s15, v4
	;; [unrolled: 1-line block ×3, first 2 shown]
	s_cbranch_vccnz .LBB67_32
; %bb.14:
	s_load_dwordx4 s[20:23], s[0:1], 0x30
	s_load_dwordx4 s[24:27], s[0:1], 0x48
	v_mov_b32_e32 v0, 0x2000
	v_cmp_gt_i32_e32 vcc, s3, v8
	v_lshl_or_b32 v16, v8, 2, v0
	v_mul_lo_u32 v0, s3, v8
	v_mov_b32_e32 v1, 0
	s_and_b64 s[34:35], s[4:5], vcc
	v_mov_b32_e32 v7, v1
	s_waitcnt lgkmcnt(0)
	v_lshl_add_u64 v[10:11], s[22:23], 0, v[0:1]
	v_mul_lo_u32 v0, s3, v6
	s_bitcmp1_b32 s12, 0
	v_lshl_add_u64 v[12:13], v[10:11], 0, v[6:7]
	v_mov_b32_e32 v9, v1
	v_lshl_add_u64 v[10:11], s[22:23], 0, v[0:1]
	v_ashrrev_i32_e32 v5, 31, v4
	s_cselect_b64 s[10:11], -1, 0
	v_lshlrev_b32_e32 v20, 7, v8
	s_cmp_eq_u32 s13, 0
	v_lshl_add_u64 v[14:15], v[10:11], 0, v[8:9]
	v_mul_lo_u32 v0, s27, v4
	v_mul_lo_u32 v3, s26, v5
	v_mad_u64_u32 v[8:9], s[12:13], s26, v4, 0
	v_add3_u32 v9, v9, v3, v0
	v_ashrrev_i32_e32 v3, 31, v2
	v_lshlrev_b32_e32 v17, 2, v6
	v_lshlrev_b32_e32 v18, 7, v6
	v_mul_lo_u32 v0, s27, v2
	v_mul_lo_u32 v7, s26, v3
	v_mad_u64_u32 v[10:11], s[12:13], s26, v2, 0
	s_cselect_b64 vcc, -1, 0
	s_mul_i32 s14, s3, s3
	v_add3_u32 v11, v11, v7, v0
	v_cndmask_b32_e32 v13, v13, v15, vcc
	v_cndmask_b32_e32 v12, v12, v14, vcc
	v_add_u32_e32 v7, 0x2000, v18
	v_add_u32_e32 v21, 0x1000, v20
	v_mov_b32_e32 v0, v1
	v_add_u32_e32 v22, v17, v20
	v_add_u32_e32 v23, v16, v18
	v_mov_b64_e32 v[14:15], s[36:37]
	s_branch .LBB67_17
.LBB67_15:                              ;   in Loop: Header=BB67_17 Depth=1
	s_or_b64 exec, exec, s[22:23]
.LBB67_16:                              ;   in Loop: Header=BB67_17 Depth=1
	s_or_b64 exec, exec, s[12:13]
	s_add_u32 s30, s30, 1
	s_addc_u32 s31, s31, 0
	v_cmp_ge_i64_e32 vcc, s[30:31], v[14:15]
	s_barrier
	s_cbranch_vccnz .LBB67_33
.LBB67_17:                              ; =>This Loop Header: Depth=1
                                        ;     Child Loop BB67_27 Depth 2
                                        ;     Child Loop BB67_31 Depth 2
	s_and_saveexec_b64 s[12:13], s[4:5]
	s_cbranch_execz .LBB67_22
; %bb.18:                               ;   in Loop: Header=BB67_17 Depth=1
	s_lshl_b64 s[22:23], s[30:31], 2
	s_add_u32 s22, s20, s22
	s_addc_u32 s23, s21, s23
	s_load_dword s22, s[22:23], 0x0
	v_mov_b64_e32 v[16:17], s[24:25]
	s_waitcnt lgkmcnt(0)
	s_sub_i32 s22, s22, s17
	s_mul_i32 s22, s22, s3
	v_add_u32_e32 v18, s22, v6
	v_ashrrev_i32_e32 v19, 31, v18
	v_mul_lo_u32 v24, s27, v18
	v_mad_u64_u32 v[16:17], s[22:23], s26, v18, v[16:17]
	v_mul_lo_u32 v25, s26, v19
	v_add3_u32 v17, v24, v17, v25
	v_lshl_add_u64 v[18:19], s[24:25], 0, v[18:19]
	s_and_saveexec_b64 s[22:23], s[6:7]
	s_cbranch_execz .LBB67_20
; %bb.19:                               ;   in Loop: Header=BB67_17 Depth=1
	v_lshl_add_u64 v[24:25], v[16:17], 0, v[4:5]
	v_lshl_add_u64 v[26:27], v[18:19], 0, v[8:9]
	v_cndmask_b32_e64 v25, v25, v27, s[10:11]
	v_cndmask_b32_e64 v24, v24, v26, s[10:11]
	global_load_sbyte v24, v[24:25], off
	s_waitcnt vmcnt(0)
	ds_write_b32 v22, v24
.LBB67_20:                              ;   in Loop: Header=BB67_17 Depth=1
	s_or_b64 exec, exec, s[22:23]
	s_and_b64 exec, exec, s[8:9]
	s_cbranch_execz .LBB67_22
; %bb.21:                               ;   in Loop: Header=BB67_17 Depth=1
	v_lshl_add_u64 v[18:19], v[18:19], 0, v[10:11]
	v_lshl_add_u64 v[16:17], v[16:17], 0, v[2:3]
	v_cndmask_b32_e64 v17, v17, v19, s[10:11]
	v_cndmask_b32_e64 v16, v16, v18, s[10:11]
	global_load_sbyte v16, v[16:17], off
	s_waitcnt vmcnt(0)
	ds_write_b32 v22, v16 offset:4096
.LBB67_22:                              ;   in Loop: Header=BB67_17 Depth=1
	s_or_b64 exec, exec, s[12:13]
	s_and_saveexec_b64 s[12:13], s[34:35]
	s_cbranch_execz .LBB67_24
; %bb.23:                               ;   in Loop: Header=BB67_17 Depth=1
	v_mov_b32_e32 v16, s14
	v_mad_u64_u32 v[16:17], s[22:23], s30, v16, v[12:13]
	s_mul_i32 s22, s31, s14
	s_nop 0
	v_add_u32_e32 v17, s22, v17
	global_load_sbyte v16, v[16:17], off
	s_waitcnt vmcnt(0)
	ds_write_b32 v23, v16
.LBB67_24:                              ;   in Loop: Header=BB67_17 Depth=1
	s_or_b64 exec, exec, s[12:13]
	s_waitcnt lgkmcnt(0)
	s_barrier
	s_and_saveexec_b64 s[12:13], s[4:5]
	s_cbranch_execz .LBB67_16
; %bb.25:                               ;   in Loop: Header=BB67_17 Depth=1
	s_and_saveexec_b64 s[22:23], s[6:7]
	s_cbranch_execz .LBB67_29
; %bb.26:                               ;   in Loop: Header=BB67_17 Depth=1
	v_mov_b32_e32 v18, v7
	v_mov_b32_e32 v19, v20
	s_mov_b32 s36, s3
.LBB67_27:                              ;   Parent Loop BB67_17 Depth=1
                                        ; =>  This Inner Loop Header: Depth=2
	ds_read_b32 v16, v18
	ds_read_b32 v17, v19
	s_add_i32 s36, s36, -1
	v_add_u32_e32 v19, 4, v19
	v_add_u32_e32 v18, 4, v18
	s_cmp_lg_u32 s36, 0
	s_waitcnt lgkmcnt(0)
	v_mad_u64_u32 v[16:17], s[40:41], v17, v16, v[0:1]
	v_mov_b32_e32 v17, v1
	v_mov_b64_e32 v[0:1], v[16:17]
	s_cbranch_scc1 .LBB67_27
; %bb.28:                               ;   in Loop: Header=BB67_17 Depth=1
	v_mov_b64_e32 v[0:1], v[16:17]
.LBB67_29:                              ;   in Loop: Header=BB67_17 Depth=1
	s_or_b64 exec, exec, s[22:23]
	s_and_saveexec_b64 s[22:23], s[8:9]
	s_cbranch_execz .LBB67_15
; %bb.30:                               ;   in Loop: Header=BB67_17 Depth=1
	v_mov_b32_e32 v16, v7
	s_mov_b32 s36, s3
	v_mov_b32_e32 v17, v21
.LBB67_31:                              ;   Parent Loop BB67_17 Depth=1
                                        ; =>  This Inner Loop Header: Depth=2
	ds_read_b32 v19, v16
	ds_read_b32 v24, v17
	v_mov_b32_e32 v18, v1
	s_add_i32 s36, s36, -1
	v_add_u32_e32 v17, 4, v17
	v_add_u32_e32 v16, 4, v16
	s_waitcnt lgkmcnt(0)
	v_mad_u64_u32 v[18:19], s[40:41], v24, v19, v[18:19]
	s_cmp_lg_u32 s36, 0
	v_mov_b32_e32 v1, v18
	s_cbranch_scc1 .LBB67_31
	s_branch .LBB67_15
.LBB67_32:
	v_mov_b32_e32 v0, 0
	v_mov_b32_e32 v1, v0
.LBB67_33:
	s_and_b64 s[4:5], s[18:19], s[4:5]
	s_and_saveexec_b64 s[6:7], s[4:5]
	s_cbranch_execz .LBB67_53
; %bb.34:
	s_mul_i32 s2, s3, s2
	v_add_u32_e32 v6, s2, v6
	s_load_dwordx2 s[2:3], s[0:1], 0x70
	v_ashrrev_i32_e32 v7, 31, v6
	s_cmp_lg_u32 s38, 0
	s_cselect_b64 s[0:1], -1, 0
	s_cmp_lg_u32 s16, 1
	s_waitcnt lgkmcnt(0)
	v_mul_lo_u32 v3, s2, v7
	v_mul_lo_u32 v5, s3, v6
	v_mad_u64_u32 v[8:9], s[6:7], s2, v6, 0
	v_add3_u32 v9, v9, v3, v5
	s_cselect_b64 s[4:5], -1, 0
	v_lshl_add_u64 v[8:9], v[8:9], 2, s[28:29]
	v_lshl_add_u64 v[6:7], v[6:7], 2, s[28:29]
	v_cmp_gt_i32_e32 vcc, s15, v4
	s_and_saveexec_b64 s[6:7], vcc
	s_cbranch_execz .LBB67_46
; %bb.35:
	s_and_b64 vcc, exec, s[0:1]
	v_ashrrev_i32_e32 v5, 31, v4
	s_mov_b64 s[8:9], -1
	s_cbranch_vccz .LBB67_41
; %bb.36:
	s_and_b64 vcc, exec, s[4:5]
	s_cbranch_vccz .LBB67_38
; %bb.37:
	v_lshl_add_u64 v[10:11], v[4:5], 2, v[8:9]
	global_load_dword v3, v[10:11], off
	v_mul_lo_u32 v12, v0, s33
	s_waitcnt vmcnt(0)
	v_mad_u64_u32 v[12:13], s[8:9], v3, s38, v[12:13]
	global_store_dword v[10:11], v12, off
	s_mov_b64 s[8:9], 0
.LBB67_38:
	s_andn2_b64 vcc, exec, s[8:9]
	s_cbranch_vccnz .LBB67_40
; %bb.39:
	v_mul_lo_u32 v3, s3, v4
	v_mul_lo_u32 v12, s2, v5
	v_mad_u64_u32 v[10:11], s[8:9], s2, v4, 0
	v_add3_u32 v11, v11, v12, v3
	v_lshl_add_u64 v[10:11], v[10:11], 2, v[6:7]
	global_load_dword v3, v[10:11], off
	v_mul_lo_u32 v12, v0, s33
	s_waitcnt vmcnt(0)
	v_mad_u64_u32 v[12:13], s[8:9], v3, s38, v[12:13]
	global_store_dword v[10:11], v12, off
.LBB67_40:
	s_mov_b64 s[8:9], 0
.LBB67_41:
	s_andn2_b64 vcc, exec, s[8:9]
	s_cbranch_vccnz .LBB67_46
; %bb.42:
	v_mul_lo_u32 v0, v0, s33
	s_mov_b64 s[8:9], -1
	s_and_b64 vcc, exec, s[4:5]
	s_cbranch_vccz .LBB67_44
; %bb.43:
	v_lshl_add_u64 v[10:11], v[4:5], 2, v[8:9]
	global_store_dword v[10:11], v0, off
	s_mov_b64 s[8:9], 0
.LBB67_44:
	s_andn2_b64 vcc, exec, s[8:9]
	s_cbranch_vccnz .LBB67_46
; %bb.45:
	v_mul_lo_u32 v3, s3, v4
	v_mul_lo_u32 v10, s2, v5
	v_mad_u64_u32 v[4:5], s[8:9], s2, v4, 0
	v_add3_u32 v5, v5, v10, v3
	v_lshl_add_u64 v[4:5], v[4:5], 2, v[6:7]
	global_store_dword v[4:5], v0, off
.LBB67_46:
	s_or_b64 exec, exec, s[6:7]
	v_cmp_gt_i32_e32 vcc, s15, v2
	s_and_b64 exec, exec, vcc
	s_cbranch_execz .LBB67_53
; %bb.47:
	v_cndmask_b32_e64 v0, 0, 1, s[4:5]
	s_andn2_b64 vcc, exec, s[0:1]
	v_ashrrev_i32_e32 v3, 31, v2
	v_cmp_ne_u32_e64 s[0:1], 1, v0
	s_cbranch_vccnz .LBB67_54
; %bb.48:
	s_and_b64 vcc, exec, s[0:1]
	s_mov_b64 s[4:5], -1
	s_cbranch_vccnz .LBB67_50
; %bb.49:
	v_lshl_add_u64 v[4:5], v[2:3], 2, v[8:9]
	global_load_dword v10, v[4:5], off
	v_mul_lo_u32 v0, v1, s33
	s_waitcnt vmcnt(0)
	v_mad_u64_u32 v[10:11], s[4:5], v10, s38, v[0:1]
	s_mov_b64 s[4:5], 0
	global_store_dword v[4:5], v10, off
.LBB67_50:
	s_andn2_b64 vcc, exec, s[4:5]
	s_cbranch_vccnz .LBB67_52
; %bb.51:
	v_mul_lo_u32 v0, s3, v2
	v_mul_lo_u32 v10, s2, v3
	v_mad_u64_u32 v[4:5], s[4:5], s2, v2, 0
	v_add3_u32 v5, v5, v10, v0
	v_lshl_add_u64 v[4:5], v[4:5], 2, v[6:7]
	global_load_dword v10, v[4:5], off
	v_mul_lo_u32 v0, v1, s33
	s_waitcnt vmcnt(0)
	v_mad_u64_u32 v[10:11], s[4:5], v10, s38, v[0:1]
	global_store_dword v[4:5], v10, off
.LBB67_52:
	s_cbranch_execz .LBB67_55
.LBB67_53:
	s_endpgm
.LBB67_54:
.LBB67_55:
	v_mul_lo_u32 v0, v1, s33
	s_and_b64 vcc, exec, s[0:1]
	s_mov_b64 s[0:1], -1
	s_cbranch_vccnz .LBB67_57
; %bb.56:
	v_lshl_add_u64 v[4:5], v[2:3], 2, v[8:9]
	s_mov_b64 s[0:1], 0
	global_store_dword v[4:5], v0, off
.LBB67_57:
	s_andn2_b64 vcc, exec, s[0:1]
	s_cbranch_vccnz .LBB67_53
; %bb.58:
	v_mul_lo_u32 v1, s3, v2
	v_mul_lo_u32 v4, s2, v3
	v_mad_u64_u32 v[2:3], s[0:1], s2, v2, 0
	v_add3_u32 v3, v3, v4, v1
	v_lshl_add_u64 v[2:3], v[2:3], 2, v[6:7]
	global_store_dword v[2:3], v0, off
	s_endpgm
	.section	.rodata,"a",@progbits
	.p2align	6, 0x0
	.amdhsa_kernel _ZN9rocsparseL31bsrmm_large_blockdim_kernel_extILj32ELj32ELj2EliaaiiEEvb20rocsparse_direction_T3_S2_llNS_24const_host_device_scalarIT7_EEPKT2_PKS2_PKT4_S2_PKT5_llS5_PT6_ll16rocsparse_order_21rocsparse_index_base_b
		.amdhsa_group_segment_fixed_size 12288
		.amdhsa_private_segment_fixed_size 0
		.amdhsa_kernarg_size 140
		.amdhsa_user_sgpr_count 2
		.amdhsa_user_sgpr_dispatch_ptr 0
		.amdhsa_user_sgpr_queue_ptr 0
		.amdhsa_user_sgpr_kernarg_segment_ptr 1
		.amdhsa_user_sgpr_dispatch_id 0
		.amdhsa_user_sgpr_kernarg_preload_length 0
		.amdhsa_user_sgpr_kernarg_preload_offset 0
		.amdhsa_user_sgpr_private_segment_size 0
		.amdhsa_uses_dynamic_stack 0
		.amdhsa_enable_private_segment 0
		.amdhsa_system_sgpr_workgroup_id_x 1
		.amdhsa_system_sgpr_workgroup_id_y 1
		.amdhsa_system_sgpr_workgroup_id_z 0
		.amdhsa_system_sgpr_workgroup_info 0
		.amdhsa_system_vgpr_workitem_id 1
		.amdhsa_next_free_vgpr 28
		.amdhsa_next_free_sgpr 42
		.amdhsa_accum_offset 28
		.amdhsa_reserve_vcc 1
		.amdhsa_float_round_mode_32 0
		.amdhsa_float_round_mode_16_64 0
		.amdhsa_float_denorm_mode_32 3
		.amdhsa_float_denorm_mode_16_64 3
		.amdhsa_dx10_clamp 1
		.amdhsa_ieee_mode 1
		.amdhsa_fp16_overflow 0
		.amdhsa_tg_split 0
		.amdhsa_exception_fp_ieee_invalid_op 0
		.amdhsa_exception_fp_denorm_src 0
		.amdhsa_exception_fp_ieee_div_zero 0
		.amdhsa_exception_fp_ieee_overflow 0
		.amdhsa_exception_fp_ieee_underflow 0
		.amdhsa_exception_fp_ieee_inexact 0
		.amdhsa_exception_int_div_zero 0
	.end_amdhsa_kernel
	.section	.text._ZN9rocsparseL31bsrmm_large_blockdim_kernel_extILj32ELj32ELj2EliaaiiEEvb20rocsparse_direction_T3_S2_llNS_24const_host_device_scalarIT7_EEPKT2_PKS2_PKT4_S2_PKT5_llS5_PT6_ll16rocsparse_order_21rocsparse_index_base_b,"axG",@progbits,_ZN9rocsparseL31bsrmm_large_blockdim_kernel_extILj32ELj32ELj2EliaaiiEEvb20rocsparse_direction_T3_S2_llNS_24const_host_device_scalarIT7_EEPKT2_PKS2_PKT4_S2_PKT5_llS5_PT6_ll16rocsparse_order_21rocsparse_index_base_b,comdat
.Lfunc_end67:
	.size	_ZN9rocsparseL31bsrmm_large_blockdim_kernel_extILj32ELj32ELj2EliaaiiEEvb20rocsparse_direction_T3_S2_llNS_24const_host_device_scalarIT7_EEPKT2_PKS2_PKT4_S2_PKT5_llS5_PT6_ll16rocsparse_order_21rocsparse_index_base_b, .Lfunc_end67-_ZN9rocsparseL31bsrmm_large_blockdim_kernel_extILj32ELj32ELj2EliaaiiEEvb20rocsparse_direction_T3_S2_llNS_24const_host_device_scalarIT7_EEPKT2_PKS2_PKT4_S2_PKT5_llS5_PT6_ll16rocsparse_order_21rocsparse_index_base_b
                                        ; -- End function
	.set _ZN9rocsparseL31bsrmm_large_blockdim_kernel_extILj32ELj32ELj2EliaaiiEEvb20rocsparse_direction_T3_S2_llNS_24const_host_device_scalarIT7_EEPKT2_PKS2_PKT4_S2_PKT5_llS5_PT6_ll16rocsparse_order_21rocsparse_index_base_b.num_vgpr, 28
	.set _ZN9rocsparseL31bsrmm_large_blockdim_kernel_extILj32ELj32ELj2EliaaiiEEvb20rocsparse_direction_T3_S2_llNS_24const_host_device_scalarIT7_EEPKT2_PKS2_PKT4_S2_PKT5_llS5_PT6_ll16rocsparse_order_21rocsparse_index_base_b.num_agpr, 0
	.set _ZN9rocsparseL31bsrmm_large_blockdim_kernel_extILj32ELj32ELj2EliaaiiEEvb20rocsparse_direction_T3_S2_llNS_24const_host_device_scalarIT7_EEPKT2_PKS2_PKT4_S2_PKT5_llS5_PT6_ll16rocsparse_order_21rocsparse_index_base_b.numbered_sgpr, 42
	.set _ZN9rocsparseL31bsrmm_large_blockdim_kernel_extILj32ELj32ELj2EliaaiiEEvb20rocsparse_direction_T3_S2_llNS_24const_host_device_scalarIT7_EEPKT2_PKS2_PKT4_S2_PKT5_llS5_PT6_ll16rocsparse_order_21rocsparse_index_base_b.num_named_barrier, 0
	.set _ZN9rocsparseL31bsrmm_large_blockdim_kernel_extILj32ELj32ELj2EliaaiiEEvb20rocsparse_direction_T3_S2_llNS_24const_host_device_scalarIT7_EEPKT2_PKS2_PKT4_S2_PKT5_llS5_PT6_ll16rocsparse_order_21rocsparse_index_base_b.private_seg_size, 0
	.set _ZN9rocsparseL31bsrmm_large_blockdim_kernel_extILj32ELj32ELj2EliaaiiEEvb20rocsparse_direction_T3_S2_llNS_24const_host_device_scalarIT7_EEPKT2_PKS2_PKT4_S2_PKT5_llS5_PT6_ll16rocsparse_order_21rocsparse_index_base_b.uses_vcc, 1
	.set _ZN9rocsparseL31bsrmm_large_blockdim_kernel_extILj32ELj32ELj2EliaaiiEEvb20rocsparse_direction_T3_S2_llNS_24const_host_device_scalarIT7_EEPKT2_PKS2_PKT4_S2_PKT5_llS5_PT6_ll16rocsparse_order_21rocsparse_index_base_b.uses_flat_scratch, 0
	.set _ZN9rocsparseL31bsrmm_large_blockdim_kernel_extILj32ELj32ELj2EliaaiiEEvb20rocsparse_direction_T3_S2_llNS_24const_host_device_scalarIT7_EEPKT2_PKS2_PKT4_S2_PKT5_llS5_PT6_ll16rocsparse_order_21rocsparse_index_base_b.has_dyn_sized_stack, 0
	.set _ZN9rocsparseL31bsrmm_large_blockdim_kernel_extILj32ELj32ELj2EliaaiiEEvb20rocsparse_direction_T3_S2_llNS_24const_host_device_scalarIT7_EEPKT2_PKS2_PKT4_S2_PKT5_llS5_PT6_ll16rocsparse_order_21rocsparse_index_base_b.has_recursion, 0
	.set _ZN9rocsparseL31bsrmm_large_blockdim_kernel_extILj32ELj32ELj2EliaaiiEEvb20rocsparse_direction_T3_S2_llNS_24const_host_device_scalarIT7_EEPKT2_PKS2_PKT4_S2_PKT5_llS5_PT6_ll16rocsparse_order_21rocsparse_index_base_b.has_indirect_call, 0
	.section	.AMDGPU.csdata,"",@progbits
; Kernel info:
; codeLenInByte = 1792
; TotalNumSgprs: 48
; NumVgprs: 28
; NumAgprs: 0
; TotalNumVgprs: 28
; ScratchSize: 0
; MemoryBound: 0
; FloatMode: 240
; IeeeMode: 1
; LDSByteSize: 12288 bytes/workgroup (compile time only)
; SGPRBlocks: 5
; VGPRBlocks: 3
; NumSGPRsForWavesPerEU: 48
; NumVGPRsForWavesPerEU: 28
; AccumOffset: 28
; Occupancy: 8
; WaveLimiterHint : 1
; COMPUTE_PGM_RSRC2:SCRATCH_EN: 0
; COMPUTE_PGM_RSRC2:USER_SGPR: 2
; COMPUTE_PGM_RSRC2:TRAP_HANDLER: 0
; COMPUTE_PGM_RSRC2:TGID_X_EN: 1
; COMPUTE_PGM_RSRC2:TGID_Y_EN: 1
; COMPUTE_PGM_RSRC2:TGID_Z_EN: 0
; COMPUTE_PGM_RSRC2:TIDIG_COMP_CNT: 1
; COMPUTE_PGM_RSRC3_GFX90A:ACCUM_OFFSET: 6
; COMPUTE_PGM_RSRC3_GFX90A:TG_SPLIT: 0
	.section	.text._ZN9rocsparseL31bsrmm_large_blockdim_kernel_extILj8ELj8ELj2EllaaiiEEvb20rocsparse_direction_T3_S2_llNS_24const_host_device_scalarIT7_EEPKT2_PKS2_PKT4_S2_PKT5_llS5_PT6_ll16rocsparse_order_21rocsparse_index_base_b,"axG",@progbits,_ZN9rocsparseL31bsrmm_large_blockdim_kernel_extILj8ELj8ELj2EllaaiiEEvb20rocsparse_direction_T3_S2_llNS_24const_host_device_scalarIT7_EEPKT2_PKS2_PKT4_S2_PKT5_llS5_PT6_ll16rocsparse_order_21rocsparse_index_base_b,comdat
	.globl	_ZN9rocsparseL31bsrmm_large_blockdim_kernel_extILj8ELj8ELj2EllaaiiEEvb20rocsparse_direction_T3_S2_llNS_24const_host_device_scalarIT7_EEPKT2_PKS2_PKT4_S2_PKT5_llS5_PT6_ll16rocsparse_order_21rocsparse_index_base_b ; -- Begin function _ZN9rocsparseL31bsrmm_large_blockdim_kernel_extILj8ELj8ELj2EllaaiiEEvb20rocsparse_direction_T3_S2_llNS_24const_host_device_scalarIT7_EEPKT2_PKS2_PKT4_S2_PKT5_llS5_PT6_ll16rocsparse_order_21rocsparse_index_base_b
	.p2align	8
	.type	_ZN9rocsparseL31bsrmm_large_blockdim_kernel_extILj8ELj8ELj2EllaaiiEEvb20rocsparse_direction_T3_S2_llNS_24const_host_device_scalarIT7_EEPKT2_PKS2_PKT4_S2_PKT5_llS5_PT6_ll16rocsparse_order_21rocsparse_index_base_b,@function
_ZN9rocsparseL31bsrmm_large_blockdim_kernel_extILj8ELj8ELj2EllaaiiEEvb20rocsparse_direction_T3_S2_llNS_24const_host_device_scalarIT7_EEPKT2_PKS2_PKT4_S2_PKT5_llS5_PT6_ll16rocsparse_order_21rocsparse_index_base_b: ; @_ZN9rocsparseL31bsrmm_large_blockdim_kernel_extILj8ELj8ELj2EllaaiiEEvb20rocsparse_direction_T3_S2_llNS_24const_host_device_scalarIT7_EEPKT2_PKS2_PKT4_S2_PKT5_llS5_PT6_ll16rocsparse_order_21rocsparse_index_base_b
; %bb.0:
	s_load_dwordx4 s[16:19], s[0:1], 0x88
	s_load_dwordx2 s[10:11], s[0:1], 0x28
	s_mov_b32 s6, s3
	s_mov_b64 s[12:13], -1
                                        ; implicit-def: $sgpr33
	s_waitcnt lgkmcnt(0)
	s_bitcmp1_b32 s18, 0
	s_cselect_b64 s[4:5], -1, 0
	s_xor_b64 s[8:9], s[4:5], -1
	s_and_b64 vcc, exec, s[8:9]
	s_cbranch_vccnz .LBB68_4
; %bb.1:
	s_load_dwordx2 s[4:5], s[0:1], 0x68
	s_andn2_b64 vcc, exec, s[12:13]
	s_cbranch_vccz .LBB68_5
.LBB68_2:
	s_and_b64 vcc, exec, s[8:9]
	s_cbranch_vccz .LBB68_6
.LBB68_3:
	s_waitcnt lgkmcnt(0)
	s_load_dword s46, s[4:5], 0x0
	s_cbranch_execz .LBB68_7
	s_branch .LBB68_8
.LBB68_4:
	s_load_dword s33, s[10:11], 0x0
	s_load_dwordx2 s[4:5], s[0:1], 0x68
	s_cbranch_execnz .LBB68_2
.LBB68_5:
	s_waitcnt lgkmcnt(0)
	s_mov_b32 s33, s10
	s_and_b64 vcc, exec, s[8:9]
	s_cbranch_vccnz .LBB68_3
.LBB68_6:
                                        ; implicit-def: $sgpr46
.LBB68_7:
	s_waitcnt lgkmcnt(0)
	s_mov_b32 s46, s4
.LBB68_8:
	s_waitcnt lgkmcnt(0)
	s_cmp_eq_u32 s33, 0
	s_cselect_b64 s[4:5], -1, 0
	s_cmp_eq_u32 s46, 1
	s_cselect_b64 s[8:9], -1, 0
	s_and_b64 s[4:5], s[4:5], s[8:9]
	s_and_b64 vcc, exec, s[4:5]
	s_cbranch_vccnz .LBB68_53
; %bb.9:
	s_load_dwordx4 s[12:15], s[0:1], 0x8
	s_load_dwordx2 s[8:9], s[0:1], 0x30
	s_ashr_i32 s3, s2, 31
	v_mov_b64_e32 v[2:3], s[2:3]
	s_mov_b64 s[28:29], 0
	s_waitcnt lgkmcnt(0)
	v_cmp_le_i64_e32 vcc, s[12:13], v[2:3]
	v_cmp_gt_i64_e64 s[4:5], s[12:13], v[2:3]
	s_mov_b64 s[30:31], 0
	s_cbranch_vccnz .LBB68_11
; %bb.10:
	s_lshl_b64 s[10:11], s[2:3], 3
	s_add_u32 s10, s8, s10
	s_addc_u32 s11, s9, s11
	s_load_dwordx2 s[10:11], s[10:11], 0x0
	s_waitcnt lgkmcnt(0)
	s_sub_u32 s30, s10, s17
	s_subb_u32 s31, s11, 0
.LBB68_11:
	s_andn2_b64 vcc, exec, s[4:5]
	s_cbranch_vccnz .LBB68_13
; %bb.12:
	s_lshl_b64 s[10:11], s[2:3], 3
	s_add_u32 s8, s8, s10
	s_addc_u32 s9, s9, s11
	s_load_dwordx2 s[8:9], s[8:9], 0x8
	s_waitcnt lgkmcnt(0)
	s_sub_u32 s28, s8, s17
	s_subb_u32 s29, s9, 0
.LBB68_13:
	s_load_dwordx2 s[18:19], s[0:1], 0x70
	s_load_dwordx2 s[34:35], s[0:1], 0x48
	v_bfe_u32 v10, v0, 10, 10
	v_lshl_add_u32 v4, s6, 4, v10
	v_mov_b32_e32 v5, 0
	v_and_b32_e32 v6, 0x3ff, v0
	v_mov_b64_e32 v[0:1], s[28:29]
	v_add_u32_e32 v2, 8, v4
	v_mov_b32_e32 v3, v5
	v_mov_b32_e32 v7, v5
	v_cmp_ge_i64_e32 vcc, s[30:31], v[0:1]
	s_waitcnt lgkmcnt(0)
	v_cmp_gt_i64_e64 s[6:7], s[34:35], v[6:7]
	v_cmp_gt_i64_e64 s[8:9], s[14:15], v[4:5]
	;; [unrolled: 1-line block ×3, first 2 shown]
	s_cbranch_vccnz .LBB68_32
; %bb.14:
	s_load_dwordx4 s[24:27], s[0:1], 0x38
	s_load_dwordx2 s[38:39], s[0:1], 0x0
	v_mov_b32_e32 v0, 0x200
	v_lshl_add_u32 v18, v10, 2, v0
	s_load_dwordx4 s[20:23], s[0:1], 0x50
	s_waitcnt lgkmcnt(0)
	v_mov_b64_e32 v[0:1], s[26:27]
	v_mad_u64_u32 v[12:13], s[26:27], s34, v10, v[0:1]
	v_mov_b32_e32 v14, v13
	v_mad_u64_u32 v[14:15], s[26:27], s35, v10, v[14:15]
	v_mov_b32_e32 v13, v14
	v_mad_u64_u32 v[0:1], s[26:27], s34, v6, v[0:1]
	v_lshl_add_u64 v[14:15], v[12:13], 0, v[6:7]
	v_mov_b32_e32 v12, v1
	v_mad_u64_u32 v[12:13], s[26:27], s35, v6, v[12:13]
	v_mov_b32_e32 v11, v5
	v_mov_b32_e32 v1, v12
	s_mul_i32 s3, s34, s35
	s_mul_hi_u32 s12, s34, s34
	v_cmp_gt_i64_e32 vcc, s[34:35], v[10:11]
	v_lshlrev_b32_e32 v20, 5, v10
	v_lshl_add_u64 v[0:1], v[0:1], 0, v[10:11]
	v_mad_u64_u32 v[10:11], s[26:27], s22, v4, 0
	s_add_i32 s12, s12, s3
	v_mov_b32_e32 v12, v11
	s_add_i32 s3, s12, s3
	s_and_b64 s[36:37], s[6:7], vcc
	v_mad_u64_u32 v[12:13], s[26:27], s23, v4, v[12:13]
	s_bitcmp1_b32 s38, 0
	v_mov_b32_e32 v11, v12
	v_mad_u64_u32 v[12:13], s[26:27], s22, v2, 0
	s_cselect_b64 s[12:13], -1, 0
	s_cmp_eq_u32 s39, 0
	v_mov_b32_e32 v16, v13
	v_lshlrev_b32_e32 v19, 2, v6
	s_cselect_b64 vcc, -1, 0
	v_lshlrev_b32_e32 v23, 5, v6
	v_cmp_gt_i64_e64 s[38:39], s[34:35], 0
	v_mad_u64_u32 v[16:17], s[26:27], s23, v2, v[16:17]
	s_mul_i32 s47, s34, s34
	v_lshl_add_u64 v[8:9], s[20:21], 0, v[6:7]
	v_mov_b32_e32 v13, v16
	s_and_b64 s[26:27], s[8:9], s[38:39]
	s_and_b64 s[38:39], s[10:11], s[38:39]
	v_cndmask_b32_e32 v15, v15, v1, vcc
	v_cndmask_b32_e32 v14, v14, v0, vcc
	v_add_u32_e32 v21, 0x200, v23
	v_add_u32_e32 v22, 0x100, v20
	v_mov_b32_e32 v0, v5
	v_mov_b32_e32 v1, v5
	v_add_u32_e32 v23, v18, v23
	v_add_u32_e32 v24, v19, v20
	s_branch .LBB68_17
.LBB68_15:                              ;   in Loop: Header=BB68_17 Depth=1
	s_or_b64 exec, exec, s[42:43]
.LBB68_16:                              ;   in Loop: Header=BB68_17 Depth=1
	s_or_b64 exec, exec, s[40:41]
	s_add_u32 s30, s30, 1
	s_addc_u32 s31, s31, 0
	v_mov_b64_e32 v[16:17], s[28:29]
	v_cmp_ge_i64_e32 vcc, s[30:31], v[16:17]
	; wave barrier
	s_cbranch_vccnz .LBB68_33
.LBB68_17:                              ; =>This Loop Header: Depth=1
                                        ;     Child Loop BB68_27 Depth 2
                                        ;     Child Loop BB68_31 Depth 2
	s_and_saveexec_b64 s[40:41], s[6:7]
	s_cbranch_execz .LBB68_22
; %bb.18:                               ;   in Loop: Header=BB68_17 Depth=1
	s_lshl_b64 s[42:43], s[30:31], 3
	s_add_u32 s42, s24, s42
	s_addc_u32 s43, s25, s43
	s_load_dwordx2 s[42:43], s[42:43], 0x0
	v_mov_b32_e32 v25, s34
	v_mov_b64_e32 v[18:19], s[20:21]
	s_waitcnt lgkmcnt(0)
	s_sub_u32 s44, s42, s17
	s_subb_u32 s45, s43, 0
	v_mad_u64_u32 v[16:17], s[42:43], s44, v25, v[6:7]
	s_mul_i32 s42, s44, s35
	s_mul_i32 s45, s45, s34
	s_add_i32 s45, s42, s45
	v_add_u32_e32 v17, s45, v17
	v_mul_lo_u32 v26, v17, s22
	v_mul_lo_u32 v27, v16, s23
	v_mad_u64_u32 v[16:17], s[42:43], v16, s22, v[18:19]
	v_mad_u64_u32 v[18:19], s[42:43], s44, v25, v[8:9]
	v_add3_u32 v17, v26, v17, v27
	v_add_u32_e32 v19, s45, v19
	s_and_saveexec_b64 s[42:43], s[8:9]
	s_cbranch_execz .LBB68_20
; %bb.19:                               ;   in Loop: Header=BB68_17 Depth=1
	v_lshl_add_u64 v[26:27], v[16:17], 0, v[4:5]
	v_lshl_add_u64 v[28:29], v[18:19], 0, v[10:11]
	v_cndmask_b32_e64 v27, v27, v29, s[12:13]
	v_cndmask_b32_e64 v26, v26, v28, s[12:13]
	global_load_sbyte v25, v[26:27], off
	s_waitcnt vmcnt(0)
	ds_write_b32 v24, v25
.LBB68_20:                              ;   in Loop: Header=BB68_17 Depth=1
	s_or_b64 exec, exec, s[42:43]
	s_and_b64 exec, exec, s[10:11]
	s_cbranch_execz .LBB68_22
; %bb.21:                               ;   in Loop: Header=BB68_17 Depth=1
	v_lshl_add_u64 v[18:19], v[18:19], 0, v[12:13]
	v_lshl_add_u64 v[16:17], v[16:17], 0, v[2:3]
	v_cndmask_b32_e64 v17, v17, v19, s[12:13]
	v_cndmask_b32_e64 v16, v16, v18, s[12:13]
	global_load_sbyte v16, v[16:17], off
	s_waitcnt vmcnt(0)
	ds_write_b32 v24, v16 offset:256
.LBB68_22:                              ;   in Loop: Header=BB68_17 Depth=1
	s_or_b64 exec, exec, s[40:41]
	s_and_saveexec_b64 s[40:41], s[36:37]
	s_cbranch_execz .LBB68_24
; %bb.23:                               ;   in Loop: Header=BB68_17 Depth=1
	s_mul_i32 s42, s3, s30
	s_mul_i32 s43, s47, s31
	v_mov_b32_e32 v16, s30
	s_add_i32 s44, s43, s42
	v_mad_u64_u32 v[16:17], s[42:43], s47, v16, v[14:15]
	v_add_u32_e32 v17, s44, v17
	global_load_sbyte v16, v[16:17], off
	s_waitcnt vmcnt(0)
	ds_write_b32 v23, v16
.LBB68_24:                              ;   in Loop: Header=BB68_17 Depth=1
	s_or_b64 exec, exec, s[40:41]
	s_waitcnt lgkmcnt(0)
	; wave barrier
	s_and_saveexec_b64 s[40:41], s[6:7]
	s_cbranch_execz .LBB68_16
; %bb.25:                               ;   in Loop: Header=BB68_17 Depth=1
	s_and_saveexec_b64 s[42:43], s[26:27]
	s_cbranch_execz .LBB68_29
; %bb.26:                               ;   in Loop: Header=BB68_17 Depth=1
	v_mov_b32_e32 v18, v21
	v_mov_b32_e32 v19, v20
	s_mov_b64 s[44:45], s[34:35]
.LBB68_27:                              ;   Parent Loop BB68_17 Depth=1
                                        ; =>  This Inner Loop Header: Depth=2
	ds_read_b32 v16, v18
	ds_read_b32 v17, v19
	s_add_u32 s44, s44, -1
	s_addc_u32 s45, s45, -1
	v_add_u32_e32 v19, 4, v19
	v_add_u32_e32 v18, 4, v18
	s_waitcnt lgkmcnt(0)
	v_mad_u64_u32 v[16:17], s[48:49], v17, v16, v[0:1]
	v_mov_b32_e32 v17, v1
	s_cmp_lg_u64 s[44:45], 0
	v_mov_b64_e32 v[0:1], v[16:17]
	s_cbranch_scc1 .LBB68_27
; %bb.28:                               ;   in Loop: Header=BB68_17 Depth=1
	v_mov_b64_e32 v[0:1], v[16:17]
.LBB68_29:                              ;   in Loop: Header=BB68_17 Depth=1
	s_or_b64 exec, exec, s[42:43]
	s_and_saveexec_b64 s[42:43], s[38:39]
	s_cbranch_execz .LBB68_15
; %bb.30:                               ;   in Loop: Header=BB68_17 Depth=1
	v_mov_b32_e32 v16, v21
	v_mov_b32_e32 v17, v22
	s_mov_b64 s[44:45], s[34:35]
.LBB68_31:                              ;   Parent Loop BB68_17 Depth=1
                                        ; =>  This Inner Loop Header: Depth=2
	ds_read_b32 v19, v16
	ds_read_b32 v25, v17
	v_mov_b32_e32 v18, v1
	s_add_u32 s44, s44, -1
	s_addc_u32 s45, s45, -1
	v_add_u32_e32 v17, 4, v17
	s_waitcnt lgkmcnt(0)
	v_mad_u64_u32 v[18:19], s[48:49], v25, v19, v[18:19]
	v_add_u32_e32 v16, 4, v16
	s_cmp_lg_u64 s[44:45], 0
	v_mov_b32_e32 v1, v18
	s_cbranch_scc1 .LBB68_31
	s_branch .LBB68_15
.LBB68_32:
	v_mov_b32_e32 v0, v5
	v_mov_b32_e32 v1, v5
.LBB68_33:
	s_and_b64 s[4:5], s[4:5], s[6:7]
	s_and_saveexec_b64 s[6:7], s[4:5]
	s_cbranch_execz .LBB68_53
; %bb.34:
	v_mov_b32_e32 v8, s2
	v_mad_u64_u32 v[6:7], s[4:5], s34, v8, v[6:7]
	s_mul_i32 s2, s35, s2
	v_add_u32_e32 v7, s2, v7
	s_load_dwordx2 s[2:3], s[0:1], 0x78
	s_cmp_lg_u32 s46, 0
	s_cselect_b64 s[0:1], -1, 0
	s_cmp_lg_u32 s16, 1
	s_cselect_b64 s[4:5], -1, 0
	s_waitcnt lgkmcnt(0)
	v_mul_lo_u32 v10, s3, v6
	v_mul_lo_u32 v11, s2, v7
	v_mad_u64_u32 v[8:9], s[6:7], s2, v6, 0
	v_add3_u32 v9, v9, v11, v10
	v_lshl_add_u64 v[8:9], v[8:9], 2, s[18:19]
	v_lshl_add_u64 v[6:7], v[6:7], 2, s[18:19]
	v_cmp_gt_i64_e32 vcc, s[14:15], v[4:5]
	s_and_saveexec_b64 s[6:7], vcc
	s_cbranch_execz .LBB68_46
; %bb.35:
	s_mov_b64 s[8:9], -1
	s_and_b64 vcc, exec, s[0:1]
	s_cbranch_vccz .LBB68_41
; %bb.36:
	s_and_b64 vcc, exec, s[4:5]
	s_cbranch_vccz .LBB68_38
; %bb.37:
	v_lshl_add_u64 v[10:11], v[4:5], 2, v[8:9]
	global_load_dword v13, v[10:11], off
	v_mul_lo_u32 v12, v0, s33
	s_waitcnt vmcnt(0)
	v_mad_u64_u32 v[12:13], s[8:9], v13, s46, v[12:13]
	global_store_dword v[10:11], v12, off
	s_mov_b64 s[8:9], 0
.LBB68_38:
	s_andn2_b64 vcc, exec, s[8:9]
	s_cbranch_vccnz .LBB68_40
; %bb.39:
	v_mad_u64_u32 v[10:11], s[8:9], s2, v4, 0
	v_mov_b32_e32 v12, v11
	v_mad_u64_u32 v[12:13], s[8:9], s3, v4, v[12:13]
	v_mov_b32_e32 v11, v12
	v_lshl_add_u64 v[10:11], v[10:11], 2, v[6:7]
	global_load_dword v13, v[10:11], off
	v_mul_lo_u32 v12, v0, s33
	s_waitcnt vmcnt(0)
	v_mad_u64_u32 v[12:13], s[8:9], v13, s46, v[12:13]
	global_store_dword v[10:11], v12, off
.LBB68_40:
	s_mov_b64 s[8:9], 0
.LBB68_41:
	s_andn2_b64 vcc, exec, s[8:9]
	s_cbranch_vccnz .LBB68_46
; %bb.42:
	v_mul_lo_u32 v0, v0, s33
	s_mov_b64 s[8:9], -1
	s_and_b64 vcc, exec, s[4:5]
	s_cbranch_vccz .LBB68_44
; %bb.43:
	v_lshl_add_u64 v[10:11], v[4:5], 2, v[8:9]
	global_store_dword v[10:11], v0, off
	s_mov_b64 s[8:9], 0
.LBB68_44:
	s_andn2_b64 vcc, exec, s[8:9]
	s_cbranch_vccnz .LBB68_46
; %bb.45:
	v_mad_u64_u32 v[10:11], s[8:9], s2, v4, 0
	v_mov_b32_e32 v12, v11
	v_mad_u64_u32 v[4:5], s[8:9], s3, v4, v[12:13]
	v_mov_b32_e32 v11, v4
	v_lshl_add_u64 v[4:5], v[10:11], 2, v[6:7]
	global_store_dword v[4:5], v0, off
.LBB68_46:
	s_or_b64 exec, exec, s[6:7]
	v_cmp_gt_i64_e32 vcc, s[14:15], v[2:3]
	s_and_b64 exec, exec, vcc
	s_cbranch_execz .LBB68_53
; %bb.47:
	v_cndmask_b32_e64 v0, 0, 1, s[4:5]
	s_andn2_b64 vcc, exec, s[0:1]
	v_cmp_ne_u32_e64 s[0:1], 1, v0
	s_cbranch_vccnz .LBB68_54
; %bb.48:
	s_and_b64 vcc, exec, s[0:1]
	s_mov_b64 s[4:5], -1
	s_cbranch_vccnz .LBB68_50
; %bb.49:
	v_lshl_add_u64 v[4:5], v[2:3], 2, v[8:9]
	global_load_dword v10, v[4:5], off
	v_mul_lo_u32 v0, v1, s33
	s_waitcnt vmcnt(0)
	v_mad_u64_u32 v[10:11], s[4:5], v10, s46, v[0:1]
	s_mov_b64 s[4:5], 0
	global_store_dword v[4:5], v10, off
.LBB68_50:
	s_andn2_b64 vcc, exec, s[4:5]
	s_cbranch_vccnz .LBB68_52
; %bb.51:
	v_mad_u64_u32 v[4:5], s[4:5], s2, v2, 0
	v_mov_b32_e32 v0, v5
	v_mad_u64_u32 v[10:11], s[4:5], s3, v2, v[0:1]
	v_mov_b32_e32 v5, v10
	v_lshl_add_u64 v[4:5], v[4:5], 2, v[6:7]
	global_load_dword v10, v[4:5], off
	v_mul_lo_u32 v0, v1, s33
	s_waitcnt vmcnt(0)
	v_mad_u64_u32 v[10:11], s[4:5], v10, s46, v[0:1]
	global_store_dword v[4:5], v10, off
.LBB68_52:
	s_cbranch_execz .LBB68_55
.LBB68_53:
	s_endpgm
.LBB68_54:
.LBB68_55:
	v_mul_lo_u32 v0, v1, s33
	s_and_b64 vcc, exec, s[0:1]
	s_mov_b64 s[0:1], -1
	s_cbranch_vccnz .LBB68_57
; %bb.56:
	v_lshl_add_u64 v[4:5], v[2:3], 2, v[8:9]
	s_mov_b64 s[0:1], 0
	global_store_dword v[4:5], v0, off
.LBB68_57:
	s_andn2_b64 vcc, exec, s[0:1]
	s_cbranch_vccnz .LBB68_53
; %bb.58:
	v_mad_u64_u32 v[4:5], s[0:1], s2, v2, 0
	v_mov_b32_e32 v8, v5
	v_mad_u64_u32 v[2:3], s[0:1], s3, v2, v[8:9]
	v_mov_b32_e32 v5, v2
	v_lshl_add_u64 v[2:3], v[4:5], 2, v[6:7]
	global_store_dword v[2:3], v0, off
	s_endpgm
	.section	.rodata,"a",@progbits
	.p2align	6, 0x0
	.amdhsa_kernel _ZN9rocsparseL31bsrmm_large_blockdim_kernel_extILj8ELj8ELj2EllaaiiEEvb20rocsparse_direction_T3_S2_llNS_24const_host_device_scalarIT7_EEPKT2_PKS2_PKT4_S2_PKT5_llS5_PT6_ll16rocsparse_order_21rocsparse_index_base_b
		.amdhsa_group_segment_fixed_size 768
		.amdhsa_private_segment_fixed_size 0
		.amdhsa_kernarg_size 148
		.amdhsa_user_sgpr_count 2
		.amdhsa_user_sgpr_dispatch_ptr 0
		.amdhsa_user_sgpr_queue_ptr 0
		.amdhsa_user_sgpr_kernarg_segment_ptr 1
		.amdhsa_user_sgpr_dispatch_id 0
		.amdhsa_user_sgpr_kernarg_preload_length 0
		.amdhsa_user_sgpr_kernarg_preload_offset 0
		.amdhsa_user_sgpr_private_segment_size 0
		.amdhsa_uses_dynamic_stack 0
		.amdhsa_enable_private_segment 0
		.amdhsa_system_sgpr_workgroup_id_x 1
		.amdhsa_system_sgpr_workgroup_id_y 1
		.amdhsa_system_sgpr_workgroup_id_z 0
		.amdhsa_system_sgpr_workgroup_info 0
		.amdhsa_system_vgpr_workitem_id 1
		.amdhsa_next_free_vgpr 30
		.amdhsa_next_free_sgpr 50
		.amdhsa_accum_offset 32
		.amdhsa_reserve_vcc 1
		.amdhsa_float_round_mode_32 0
		.amdhsa_float_round_mode_16_64 0
		.amdhsa_float_denorm_mode_32 3
		.amdhsa_float_denorm_mode_16_64 3
		.amdhsa_dx10_clamp 1
		.amdhsa_ieee_mode 1
		.amdhsa_fp16_overflow 0
		.amdhsa_tg_split 0
		.amdhsa_exception_fp_ieee_invalid_op 0
		.amdhsa_exception_fp_denorm_src 0
		.amdhsa_exception_fp_ieee_div_zero 0
		.amdhsa_exception_fp_ieee_overflow 0
		.amdhsa_exception_fp_ieee_underflow 0
		.amdhsa_exception_fp_ieee_inexact 0
		.amdhsa_exception_int_div_zero 0
	.end_amdhsa_kernel
	.section	.text._ZN9rocsparseL31bsrmm_large_blockdim_kernel_extILj8ELj8ELj2EllaaiiEEvb20rocsparse_direction_T3_S2_llNS_24const_host_device_scalarIT7_EEPKT2_PKS2_PKT4_S2_PKT5_llS5_PT6_ll16rocsparse_order_21rocsparse_index_base_b,"axG",@progbits,_ZN9rocsparseL31bsrmm_large_blockdim_kernel_extILj8ELj8ELj2EllaaiiEEvb20rocsparse_direction_T3_S2_llNS_24const_host_device_scalarIT7_EEPKT2_PKS2_PKT4_S2_PKT5_llS5_PT6_ll16rocsparse_order_21rocsparse_index_base_b,comdat
.Lfunc_end68:
	.size	_ZN9rocsparseL31bsrmm_large_blockdim_kernel_extILj8ELj8ELj2EllaaiiEEvb20rocsparse_direction_T3_S2_llNS_24const_host_device_scalarIT7_EEPKT2_PKS2_PKT4_S2_PKT5_llS5_PT6_ll16rocsparse_order_21rocsparse_index_base_b, .Lfunc_end68-_ZN9rocsparseL31bsrmm_large_blockdim_kernel_extILj8ELj8ELj2EllaaiiEEvb20rocsparse_direction_T3_S2_llNS_24const_host_device_scalarIT7_EEPKT2_PKS2_PKT4_S2_PKT5_llS5_PT6_ll16rocsparse_order_21rocsparse_index_base_b
                                        ; -- End function
	.set _ZN9rocsparseL31bsrmm_large_blockdim_kernel_extILj8ELj8ELj2EllaaiiEEvb20rocsparse_direction_T3_S2_llNS_24const_host_device_scalarIT7_EEPKT2_PKS2_PKT4_S2_PKT5_llS5_PT6_ll16rocsparse_order_21rocsparse_index_base_b.num_vgpr, 30
	.set _ZN9rocsparseL31bsrmm_large_blockdim_kernel_extILj8ELj8ELj2EllaaiiEEvb20rocsparse_direction_T3_S2_llNS_24const_host_device_scalarIT7_EEPKT2_PKS2_PKT4_S2_PKT5_llS5_PT6_ll16rocsparse_order_21rocsparse_index_base_b.num_agpr, 0
	.set _ZN9rocsparseL31bsrmm_large_blockdim_kernel_extILj8ELj8ELj2EllaaiiEEvb20rocsparse_direction_T3_S2_llNS_24const_host_device_scalarIT7_EEPKT2_PKS2_PKT4_S2_PKT5_llS5_PT6_ll16rocsparse_order_21rocsparse_index_base_b.numbered_sgpr, 50
	.set _ZN9rocsparseL31bsrmm_large_blockdim_kernel_extILj8ELj8ELj2EllaaiiEEvb20rocsparse_direction_T3_S2_llNS_24const_host_device_scalarIT7_EEPKT2_PKS2_PKT4_S2_PKT5_llS5_PT6_ll16rocsparse_order_21rocsparse_index_base_b.num_named_barrier, 0
	.set _ZN9rocsparseL31bsrmm_large_blockdim_kernel_extILj8ELj8ELj2EllaaiiEEvb20rocsparse_direction_T3_S2_llNS_24const_host_device_scalarIT7_EEPKT2_PKS2_PKT4_S2_PKT5_llS5_PT6_ll16rocsparse_order_21rocsparse_index_base_b.private_seg_size, 0
	.set _ZN9rocsparseL31bsrmm_large_blockdim_kernel_extILj8ELj8ELj2EllaaiiEEvb20rocsparse_direction_T3_S2_llNS_24const_host_device_scalarIT7_EEPKT2_PKS2_PKT4_S2_PKT5_llS5_PT6_ll16rocsparse_order_21rocsparse_index_base_b.uses_vcc, 1
	.set _ZN9rocsparseL31bsrmm_large_blockdim_kernel_extILj8ELj8ELj2EllaaiiEEvb20rocsparse_direction_T3_S2_llNS_24const_host_device_scalarIT7_EEPKT2_PKS2_PKT4_S2_PKT5_llS5_PT6_ll16rocsparse_order_21rocsparse_index_base_b.uses_flat_scratch, 0
	.set _ZN9rocsparseL31bsrmm_large_blockdim_kernel_extILj8ELj8ELj2EllaaiiEEvb20rocsparse_direction_T3_S2_llNS_24const_host_device_scalarIT7_EEPKT2_PKS2_PKT4_S2_PKT5_llS5_PT6_ll16rocsparse_order_21rocsparse_index_base_b.has_dyn_sized_stack, 0
	.set _ZN9rocsparseL31bsrmm_large_blockdim_kernel_extILj8ELj8ELj2EllaaiiEEvb20rocsparse_direction_T3_S2_llNS_24const_host_device_scalarIT7_EEPKT2_PKS2_PKT4_S2_PKT5_llS5_PT6_ll16rocsparse_order_21rocsparse_index_base_b.has_recursion, 0
	.set _ZN9rocsparseL31bsrmm_large_blockdim_kernel_extILj8ELj8ELj2EllaaiiEEvb20rocsparse_direction_T3_S2_llNS_24const_host_device_scalarIT7_EEPKT2_PKS2_PKT4_S2_PKT5_llS5_PT6_ll16rocsparse_order_21rocsparse_index_base_b.has_indirect_call, 0
	.section	.AMDGPU.csdata,"",@progbits
; Kernel info:
; codeLenInByte = 1840
; TotalNumSgprs: 56
; NumVgprs: 30
; NumAgprs: 0
; TotalNumVgprs: 30
; ScratchSize: 0
; MemoryBound: 0
; FloatMode: 240
; IeeeMode: 1
; LDSByteSize: 768 bytes/workgroup (compile time only)
; SGPRBlocks: 6
; VGPRBlocks: 3
; NumSGPRsForWavesPerEU: 56
; NumVGPRsForWavesPerEU: 30
; AccumOffset: 32
; Occupancy: 8
; WaveLimiterHint : 1
; COMPUTE_PGM_RSRC2:SCRATCH_EN: 0
; COMPUTE_PGM_RSRC2:USER_SGPR: 2
; COMPUTE_PGM_RSRC2:TRAP_HANDLER: 0
; COMPUTE_PGM_RSRC2:TGID_X_EN: 1
; COMPUTE_PGM_RSRC2:TGID_Y_EN: 1
; COMPUTE_PGM_RSRC2:TGID_Z_EN: 0
; COMPUTE_PGM_RSRC2:TIDIG_COMP_CNT: 1
; COMPUTE_PGM_RSRC3_GFX90A:ACCUM_OFFSET: 7
; COMPUTE_PGM_RSRC3_GFX90A:TG_SPLIT: 0
	.section	.text._ZN9rocsparseL31bsrmm_large_blockdim_kernel_extILj4ELj16ELj2EllaaiiEEvb20rocsparse_direction_T3_S2_llNS_24const_host_device_scalarIT7_EEPKT2_PKS2_PKT4_S2_PKT5_llS5_PT6_ll16rocsparse_order_21rocsparse_index_base_b,"axG",@progbits,_ZN9rocsparseL31bsrmm_large_blockdim_kernel_extILj4ELj16ELj2EllaaiiEEvb20rocsparse_direction_T3_S2_llNS_24const_host_device_scalarIT7_EEPKT2_PKS2_PKT4_S2_PKT5_llS5_PT6_ll16rocsparse_order_21rocsparse_index_base_b,comdat
	.globl	_ZN9rocsparseL31bsrmm_large_blockdim_kernel_extILj4ELj16ELj2EllaaiiEEvb20rocsparse_direction_T3_S2_llNS_24const_host_device_scalarIT7_EEPKT2_PKS2_PKT4_S2_PKT5_llS5_PT6_ll16rocsparse_order_21rocsparse_index_base_b ; -- Begin function _ZN9rocsparseL31bsrmm_large_blockdim_kernel_extILj4ELj16ELj2EllaaiiEEvb20rocsparse_direction_T3_S2_llNS_24const_host_device_scalarIT7_EEPKT2_PKS2_PKT4_S2_PKT5_llS5_PT6_ll16rocsparse_order_21rocsparse_index_base_b
	.p2align	8
	.type	_ZN9rocsparseL31bsrmm_large_blockdim_kernel_extILj4ELj16ELj2EllaaiiEEvb20rocsparse_direction_T3_S2_llNS_24const_host_device_scalarIT7_EEPKT2_PKS2_PKT4_S2_PKT5_llS5_PT6_ll16rocsparse_order_21rocsparse_index_base_b,@function
_ZN9rocsparseL31bsrmm_large_blockdim_kernel_extILj4ELj16ELj2EllaaiiEEvb20rocsparse_direction_T3_S2_llNS_24const_host_device_scalarIT7_EEPKT2_PKS2_PKT4_S2_PKT5_llS5_PT6_ll16rocsparse_order_21rocsparse_index_base_b: ; @_ZN9rocsparseL31bsrmm_large_blockdim_kernel_extILj4ELj16ELj2EllaaiiEEvb20rocsparse_direction_T3_S2_llNS_24const_host_device_scalarIT7_EEPKT2_PKS2_PKT4_S2_PKT5_llS5_PT6_ll16rocsparse_order_21rocsparse_index_base_b
; %bb.0:
	s_load_dwordx4 s[16:19], s[0:1], 0x88
	s_load_dwordx2 s[10:11], s[0:1], 0x28
	s_mov_b32 s6, s3
	s_mov_b64 s[12:13], -1
                                        ; implicit-def: $sgpr33
	s_waitcnt lgkmcnt(0)
	s_bitcmp1_b32 s18, 0
	s_cselect_b64 s[4:5], -1, 0
	s_xor_b64 s[8:9], s[4:5], -1
	s_and_b64 vcc, exec, s[8:9]
	s_cbranch_vccnz .LBB69_4
; %bb.1:
	s_load_dwordx2 s[4:5], s[0:1], 0x68
	s_andn2_b64 vcc, exec, s[12:13]
	s_cbranch_vccz .LBB69_5
.LBB69_2:
	s_and_b64 vcc, exec, s[8:9]
	s_cbranch_vccz .LBB69_6
.LBB69_3:
	s_waitcnt lgkmcnt(0)
	s_load_dword s46, s[4:5], 0x0
	s_cbranch_execz .LBB69_7
	s_branch .LBB69_8
.LBB69_4:
	s_load_dword s33, s[10:11], 0x0
	s_load_dwordx2 s[4:5], s[0:1], 0x68
	s_cbranch_execnz .LBB69_2
.LBB69_5:
	s_waitcnt lgkmcnt(0)
	s_mov_b32 s33, s10
	s_and_b64 vcc, exec, s[8:9]
	s_cbranch_vccnz .LBB69_3
.LBB69_6:
                                        ; implicit-def: $sgpr46
.LBB69_7:
	s_waitcnt lgkmcnt(0)
	s_mov_b32 s46, s4
.LBB69_8:
	s_waitcnt lgkmcnt(0)
	s_cmp_eq_u32 s33, 0
	s_cselect_b64 s[4:5], -1, 0
	s_cmp_eq_u32 s46, 1
	s_cselect_b64 s[8:9], -1, 0
	s_and_b64 s[4:5], s[4:5], s[8:9]
	s_and_b64 vcc, exec, s[4:5]
	s_cbranch_vccnz .LBB69_53
; %bb.9:
	s_load_dwordx4 s[12:15], s[0:1], 0x8
	s_load_dwordx2 s[8:9], s[0:1], 0x30
	s_ashr_i32 s3, s2, 31
	v_mov_b64_e32 v[2:3], s[2:3]
	s_mov_b64 s[28:29], 0
	s_waitcnt lgkmcnt(0)
	v_cmp_le_i64_e32 vcc, s[12:13], v[2:3]
	v_cmp_gt_i64_e64 s[4:5], s[12:13], v[2:3]
	s_mov_b64 s[30:31], 0
	s_cbranch_vccnz .LBB69_11
; %bb.10:
	s_lshl_b64 s[10:11], s[2:3], 3
	s_add_u32 s10, s8, s10
	s_addc_u32 s11, s9, s11
	s_load_dwordx2 s[10:11], s[10:11], 0x0
	s_waitcnt lgkmcnt(0)
	s_sub_u32 s30, s10, s17
	s_subb_u32 s31, s11, 0
.LBB69_11:
	s_andn2_b64 vcc, exec, s[4:5]
	s_cbranch_vccnz .LBB69_13
; %bb.12:
	s_lshl_b64 s[10:11], s[2:3], 3
	s_add_u32 s8, s8, s10
	s_addc_u32 s9, s9, s11
	s_load_dwordx2 s[8:9], s[8:9], 0x8
	s_waitcnt lgkmcnt(0)
	s_sub_u32 s28, s8, s17
	s_subb_u32 s29, s9, 0
.LBB69_13:
	s_load_dwordx2 s[18:19], s[0:1], 0x70
	s_load_dwordx2 s[34:35], s[0:1], 0x48
	v_bfe_u32 v10, v0, 10, 10
	v_lshl_add_u32 v4, s6, 5, v10
	v_mov_b32_e32 v5, 0
	v_and_b32_e32 v6, 0x3ff, v0
	v_mov_b64_e32 v[0:1], s[28:29]
	v_add_u32_e32 v2, 16, v4
	v_mov_b32_e32 v3, v5
	v_mov_b32_e32 v7, v5
	v_cmp_ge_i64_e32 vcc, s[30:31], v[0:1]
	s_waitcnt lgkmcnt(0)
	v_cmp_gt_i64_e64 s[6:7], s[34:35], v[6:7]
	v_cmp_gt_i64_e64 s[8:9], s[14:15], v[4:5]
	;; [unrolled: 1-line block ×3, first 2 shown]
	s_cbranch_vccnz .LBB69_32
; %bb.14:
	s_load_dwordx4 s[24:27], s[0:1], 0x38
	s_load_dwordx2 s[38:39], s[0:1], 0x0
	v_mov_b32_e32 v0, 0x200
	v_lshl_add_u32 v18, v10, 2, v0
	s_load_dwordx4 s[20:23], s[0:1], 0x50
	s_waitcnt lgkmcnt(0)
	v_mov_b64_e32 v[0:1], s[26:27]
	v_mad_u64_u32 v[12:13], s[26:27], s34, v10, v[0:1]
	v_mov_b32_e32 v14, v13
	v_mad_u64_u32 v[14:15], s[26:27], s35, v10, v[14:15]
	v_mov_b32_e32 v13, v14
	v_mad_u64_u32 v[0:1], s[26:27], s34, v6, v[0:1]
	v_lshl_add_u64 v[14:15], v[12:13], 0, v[6:7]
	v_mov_b32_e32 v12, v1
	v_mad_u64_u32 v[12:13], s[26:27], s35, v6, v[12:13]
	v_mov_b32_e32 v11, v5
	v_mov_b32_e32 v1, v12
	s_mul_i32 s3, s34, s35
	s_mul_hi_u32 s12, s34, s34
	v_cmp_gt_i64_e32 vcc, s[34:35], v[10:11]
	v_lshlrev_b32_e32 v20, 4, v10
	v_lshl_add_u64 v[0:1], v[0:1], 0, v[10:11]
	v_mad_u64_u32 v[10:11], s[26:27], s22, v4, 0
	s_add_i32 s12, s12, s3
	v_mov_b32_e32 v12, v11
	s_add_i32 s3, s12, s3
	s_and_b64 s[36:37], s[6:7], vcc
	v_mad_u64_u32 v[12:13], s[26:27], s23, v4, v[12:13]
	s_bitcmp1_b32 s38, 0
	v_mov_b32_e32 v11, v12
	v_mad_u64_u32 v[12:13], s[26:27], s22, v2, 0
	s_cselect_b64 s[12:13], -1, 0
	s_cmp_eq_u32 s39, 0
	v_mov_b32_e32 v16, v13
	v_lshlrev_b32_e32 v19, 2, v6
	s_cselect_b64 vcc, -1, 0
	v_lshlrev_b32_e32 v23, 4, v6
	v_cmp_gt_i64_e64 s[38:39], s[34:35], 0
	v_mad_u64_u32 v[16:17], s[26:27], s23, v2, v[16:17]
	s_mul_i32 s47, s34, s34
	v_lshl_add_u64 v[8:9], s[20:21], 0, v[6:7]
	v_mov_b32_e32 v13, v16
	s_and_b64 s[26:27], s[8:9], s[38:39]
	s_and_b64 s[38:39], s[10:11], s[38:39]
	v_cndmask_b32_e32 v15, v15, v1, vcc
	v_cndmask_b32_e32 v14, v14, v0, vcc
	v_add_u32_e32 v21, 0x200, v23
	v_add_u32_e32 v22, 0x100, v20
	v_mov_b32_e32 v0, v5
	v_mov_b32_e32 v1, v5
	v_add_u32_e32 v23, v18, v23
	v_add_u32_e32 v24, v19, v20
	s_branch .LBB69_17
.LBB69_15:                              ;   in Loop: Header=BB69_17 Depth=1
	s_or_b64 exec, exec, s[42:43]
.LBB69_16:                              ;   in Loop: Header=BB69_17 Depth=1
	s_or_b64 exec, exec, s[40:41]
	s_add_u32 s30, s30, 1
	s_addc_u32 s31, s31, 0
	v_mov_b64_e32 v[16:17], s[28:29]
	v_cmp_ge_i64_e32 vcc, s[30:31], v[16:17]
	; wave barrier
	s_cbranch_vccnz .LBB69_33
.LBB69_17:                              ; =>This Loop Header: Depth=1
                                        ;     Child Loop BB69_27 Depth 2
                                        ;     Child Loop BB69_31 Depth 2
	s_and_saveexec_b64 s[40:41], s[6:7]
	s_cbranch_execz .LBB69_22
; %bb.18:                               ;   in Loop: Header=BB69_17 Depth=1
	s_lshl_b64 s[42:43], s[30:31], 3
	s_add_u32 s42, s24, s42
	s_addc_u32 s43, s25, s43
	s_load_dwordx2 s[42:43], s[42:43], 0x0
	v_mov_b32_e32 v25, s34
	v_mov_b64_e32 v[18:19], s[20:21]
	s_waitcnt lgkmcnt(0)
	s_sub_u32 s44, s42, s17
	s_subb_u32 s45, s43, 0
	v_mad_u64_u32 v[16:17], s[42:43], s44, v25, v[6:7]
	s_mul_i32 s42, s44, s35
	s_mul_i32 s45, s45, s34
	s_add_i32 s45, s42, s45
	v_add_u32_e32 v17, s45, v17
	v_mul_lo_u32 v26, v17, s22
	v_mul_lo_u32 v27, v16, s23
	v_mad_u64_u32 v[16:17], s[42:43], v16, s22, v[18:19]
	v_mad_u64_u32 v[18:19], s[42:43], s44, v25, v[8:9]
	v_add3_u32 v17, v26, v17, v27
	v_add_u32_e32 v19, s45, v19
	s_and_saveexec_b64 s[42:43], s[8:9]
	s_cbranch_execz .LBB69_20
; %bb.19:                               ;   in Loop: Header=BB69_17 Depth=1
	v_lshl_add_u64 v[26:27], v[16:17], 0, v[4:5]
	v_lshl_add_u64 v[28:29], v[18:19], 0, v[10:11]
	v_cndmask_b32_e64 v27, v27, v29, s[12:13]
	v_cndmask_b32_e64 v26, v26, v28, s[12:13]
	global_load_sbyte v25, v[26:27], off
	s_waitcnt vmcnt(0)
	ds_write_b32 v24, v25
.LBB69_20:                              ;   in Loop: Header=BB69_17 Depth=1
	s_or_b64 exec, exec, s[42:43]
	s_and_b64 exec, exec, s[10:11]
	s_cbranch_execz .LBB69_22
; %bb.21:                               ;   in Loop: Header=BB69_17 Depth=1
	v_lshl_add_u64 v[18:19], v[18:19], 0, v[12:13]
	v_lshl_add_u64 v[16:17], v[16:17], 0, v[2:3]
	v_cndmask_b32_e64 v17, v17, v19, s[12:13]
	v_cndmask_b32_e64 v16, v16, v18, s[12:13]
	global_load_sbyte v16, v[16:17], off
	s_waitcnt vmcnt(0)
	ds_write_b32 v24, v16 offset:256
.LBB69_22:                              ;   in Loop: Header=BB69_17 Depth=1
	s_or_b64 exec, exec, s[40:41]
	s_and_saveexec_b64 s[40:41], s[36:37]
	s_cbranch_execz .LBB69_24
; %bb.23:                               ;   in Loop: Header=BB69_17 Depth=1
	s_mul_i32 s42, s3, s30
	s_mul_i32 s43, s47, s31
	v_mov_b32_e32 v16, s30
	s_add_i32 s44, s43, s42
	v_mad_u64_u32 v[16:17], s[42:43], s47, v16, v[14:15]
	v_add_u32_e32 v17, s44, v17
	global_load_sbyte v16, v[16:17], off
	s_waitcnt vmcnt(0)
	ds_write_b32 v23, v16
.LBB69_24:                              ;   in Loop: Header=BB69_17 Depth=1
	s_or_b64 exec, exec, s[40:41]
	s_waitcnt lgkmcnt(0)
	; wave barrier
	s_and_saveexec_b64 s[40:41], s[6:7]
	s_cbranch_execz .LBB69_16
; %bb.25:                               ;   in Loop: Header=BB69_17 Depth=1
	s_and_saveexec_b64 s[42:43], s[26:27]
	s_cbranch_execz .LBB69_29
; %bb.26:                               ;   in Loop: Header=BB69_17 Depth=1
	v_mov_b32_e32 v18, v21
	v_mov_b32_e32 v19, v20
	s_mov_b64 s[44:45], s[34:35]
.LBB69_27:                              ;   Parent Loop BB69_17 Depth=1
                                        ; =>  This Inner Loop Header: Depth=2
	ds_read_b32 v16, v18
	ds_read_b32 v17, v19
	s_add_u32 s44, s44, -1
	s_addc_u32 s45, s45, -1
	v_add_u32_e32 v19, 4, v19
	v_add_u32_e32 v18, 4, v18
	s_waitcnt lgkmcnt(0)
	v_mad_u64_u32 v[16:17], s[48:49], v17, v16, v[0:1]
	v_mov_b32_e32 v17, v1
	s_cmp_lg_u64 s[44:45], 0
	v_mov_b64_e32 v[0:1], v[16:17]
	s_cbranch_scc1 .LBB69_27
; %bb.28:                               ;   in Loop: Header=BB69_17 Depth=1
	v_mov_b64_e32 v[0:1], v[16:17]
.LBB69_29:                              ;   in Loop: Header=BB69_17 Depth=1
	s_or_b64 exec, exec, s[42:43]
	s_and_saveexec_b64 s[42:43], s[38:39]
	s_cbranch_execz .LBB69_15
; %bb.30:                               ;   in Loop: Header=BB69_17 Depth=1
	v_mov_b32_e32 v16, v21
	v_mov_b32_e32 v17, v22
	s_mov_b64 s[44:45], s[34:35]
.LBB69_31:                              ;   Parent Loop BB69_17 Depth=1
                                        ; =>  This Inner Loop Header: Depth=2
	ds_read_b32 v19, v16
	ds_read_b32 v25, v17
	v_mov_b32_e32 v18, v1
	s_add_u32 s44, s44, -1
	s_addc_u32 s45, s45, -1
	v_add_u32_e32 v17, 4, v17
	s_waitcnt lgkmcnt(0)
	v_mad_u64_u32 v[18:19], s[48:49], v25, v19, v[18:19]
	v_add_u32_e32 v16, 4, v16
	s_cmp_lg_u64 s[44:45], 0
	v_mov_b32_e32 v1, v18
	s_cbranch_scc1 .LBB69_31
	s_branch .LBB69_15
.LBB69_32:
	v_mov_b32_e32 v0, v5
	v_mov_b32_e32 v1, v5
.LBB69_33:
	s_and_b64 s[4:5], s[4:5], s[6:7]
	s_and_saveexec_b64 s[6:7], s[4:5]
	s_cbranch_execz .LBB69_53
; %bb.34:
	v_mov_b32_e32 v8, s2
	v_mad_u64_u32 v[6:7], s[4:5], s34, v8, v[6:7]
	s_mul_i32 s2, s35, s2
	v_add_u32_e32 v7, s2, v7
	s_load_dwordx2 s[2:3], s[0:1], 0x78
	s_cmp_lg_u32 s46, 0
	s_cselect_b64 s[0:1], -1, 0
	s_cmp_lg_u32 s16, 1
	s_cselect_b64 s[4:5], -1, 0
	s_waitcnt lgkmcnt(0)
	v_mul_lo_u32 v10, s3, v6
	v_mul_lo_u32 v11, s2, v7
	v_mad_u64_u32 v[8:9], s[6:7], s2, v6, 0
	v_add3_u32 v9, v9, v11, v10
	v_lshl_add_u64 v[8:9], v[8:9], 2, s[18:19]
	v_lshl_add_u64 v[6:7], v[6:7], 2, s[18:19]
	v_cmp_gt_i64_e32 vcc, s[14:15], v[4:5]
	s_and_saveexec_b64 s[6:7], vcc
	s_cbranch_execz .LBB69_46
; %bb.35:
	s_mov_b64 s[8:9], -1
	s_and_b64 vcc, exec, s[0:1]
	s_cbranch_vccz .LBB69_41
; %bb.36:
	s_and_b64 vcc, exec, s[4:5]
	s_cbranch_vccz .LBB69_38
; %bb.37:
	v_lshl_add_u64 v[10:11], v[4:5], 2, v[8:9]
	global_load_dword v13, v[10:11], off
	v_mul_lo_u32 v12, v0, s33
	s_waitcnt vmcnt(0)
	v_mad_u64_u32 v[12:13], s[8:9], v13, s46, v[12:13]
	global_store_dword v[10:11], v12, off
	s_mov_b64 s[8:9], 0
.LBB69_38:
	s_andn2_b64 vcc, exec, s[8:9]
	s_cbranch_vccnz .LBB69_40
; %bb.39:
	v_mad_u64_u32 v[10:11], s[8:9], s2, v4, 0
	v_mov_b32_e32 v12, v11
	v_mad_u64_u32 v[12:13], s[8:9], s3, v4, v[12:13]
	v_mov_b32_e32 v11, v12
	v_lshl_add_u64 v[10:11], v[10:11], 2, v[6:7]
	global_load_dword v13, v[10:11], off
	v_mul_lo_u32 v12, v0, s33
	s_waitcnt vmcnt(0)
	v_mad_u64_u32 v[12:13], s[8:9], v13, s46, v[12:13]
	global_store_dword v[10:11], v12, off
.LBB69_40:
	s_mov_b64 s[8:9], 0
.LBB69_41:
	s_andn2_b64 vcc, exec, s[8:9]
	s_cbranch_vccnz .LBB69_46
; %bb.42:
	v_mul_lo_u32 v0, v0, s33
	s_mov_b64 s[8:9], -1
	s_and_b64 vcc, exec, s[4:5]
	s_cbranch_vccz .LBB69_44
; %bb.43:
	v_lshl_add_u64 v[10:11], v[4:5], 2, v[8:9]
	global_store_dword v[10:11], v0, off
	s_mov_b64 s[8:9], 0
.LBB69_44:
	s_andn2_b64 vcc, exec, s[8:9]
	s_cbranch_vccnz .LBB69_46
; %bb.45:
	v_mad_u64_u32 v[10:11], s[8:9], s2, v4, 0
	v_mov_b32_e32 v12, v11
	v_mad_u64_u32 v[4:5], s[8:9], s3, v4, v[12:13]
	v_mov_b32_e32 v11, v4
	v_lshl_add_u64 v[4:5], v[10:11], 2, v[6:7]
	global_store_dword v[4:5], v0, off
.LBB69_46:
	s_or_b64 exec, exec, s[6:7]
	v_cmp_gt_i64_e32 vcc, s[14:15], v[2:3]
	s_and_b64 exec, exec, vcc
	s_cbranch_execz .LBB69_53
; %bb.47:
	v_cndmask_b32_e64 v0, 0, 1, s[4:5]
	s_andn2_b64 vcc, exec, s[0:1]
	v_cmp_ne_u32_e64 s[0:1], 1, v0
	s_cbranch_vccnz .LBB69_54
; %bb.48:
	s_and_b64 vcc, exec, s[0:1]
	s_mov_b64 s[4:5], -1
	s_cbranch_vccnz .LBB69_50
; %bb.49:
	v_lshl_add_u64 v[4:5], v[2:3], 2, v[8:9]
	global_load_dword v10, v[4:5], off
	v_mul_lo_u32 v0, v1, s33
	s_waitcnt vmcnt(0)
	v_mad_u64_u32 v[10:11], s[4:5], v10, s46, v[0:1]
	s_mov_b64 s[4:5], 0
	global_store_dword v[4:5], v10, off
.LBB69_50:
	s_andn2_b64 vcc, exec, s[4:5]
	s_cbranch_vccnz .LBB69_52
; %bb.51:
	v_mad_u64_u32 v[4:5], s[4:5], s2, v2, 0
	v_mov_b32_e32 v0, v5
	v_mad_u64_u32 v[10:11], s[4:5], s3, v2, v[0:1]
	v_mov_b32_e32 v5, v10
	v_lshl_add_u64 v[4:5], v[4:5], 2, v[6:7]
	global_load_dword v10, v[4:5], off
	v_mul_lo_u32 v0, v1, s33
	s_waitcnt vmcnt(0)
	v_mad_u64_u32 v[10:11], s[4:5], v10, s46, v[0:1]
	global_store_dword v[4:5], v10, off
.LBB69_52:
	s_cbranch_execz .LBB69_55
.LBB69_53:
	s_endpgm
.LBB69_54:
.LBB69_55:
	v_mul_lo_u32 v0, v1, s33
	s_and_b64 vcc, exec, s[0:1]
	s_mov_b64 s[0:1], -1
	s_cbranch_vccnz .LBB69_57
; %bb.56:
	v_lshl_add_u64 v[4:5], v[2:3], 2, v[8:9]
	s_mov_b64 s[0:1], 0
	global_store_dword v[4:5], v0, off
.LBB69_57:
	s_andn2_b64 vcc, exec, s[0:1]
	s_cbranch_vccnz .LBB69_53
; %bb.58:
	v_mad_u64_u32 v[4:5], s[0:1], s2, v2, 0
	v_mov_b32_e32 v8, v5
	v_mad_u64_u32 v[2:3], s[0:1], s3, v2, v[8:9]
	v_mov_b32_e32 v5, v2
	v_lshl_add_u64 v[2:3], v[4:5], 2, v[6:7]
	global_store_dword v[2:3], v0, off
	s_endpgm
	.section	.rodata,"a",@progbits
	.p2align	6, 0x0
	.amdhsa_kernel _ZN9rocsparseL31bsrmm_large_blockdim_kernel_extILj4ELj16ELj2EllaaiiEEvb20rocsparse_direction_T3_S2_llNS_24const_host_device_scalarIT7_EEPKT2_PKS2_PKT4_S2_PKT5_llS5_PT6_ll16rocsparse_order_21rocsparse_index_base_b
		.amdhsa_group_segment_fixed_size 576
		.amdhsa_private_segment_fixed_size 0
		.amdhsa_kernarg_size 148
		.amdhsa_user_sgpr_count 2
		.amdhsa_user_sgpr_dispatch_ptr 0
		.amdhsa_user_sgpr_queue_ptr 0
		.amdhsa_user_sgpr_kernarg_segment_ptr 1
		.amdhsa_user_sgpr_dispatch_id 0
		.amdhsa_user_sgpr_kernarg_preload_length 0
		.amdhsa_user_sgpr_kernarg_preload_offset 0
		.amdhsa_user_sgpr_private_segment_size 0
		.amdhsa_uses_dynamic_stack 0
		.amdhsa_enable_private_segment 0
		.amdhsa_system_sgpr_workgroup_id_x 1
		.amdhsa_system_sgpr_workgroup_id_y 1
		.amdhsa_system_sgpr_workgroup_id_z 0
		.amdhsa_system_sgpr_workgroup_info 0
		.amdhsa_system_vgpr_workitem_id 1
		.amdhsa_next_free_vgpr 30
		.amdhsa_next_free_sgpr 50
		.amdhsa_accum_offset 32
		.amdhsa_reserve_vcc 1
		.amdhsa_float_round_mode_32 0
		.amdhsa_float_round_mode_16_64 0
		.amdhsa_float_denorm_mode_32 3
		.amdhsa_float_denorm_mode_16_64 3
		.amdhsa_dx10_clamp 1
		.amdhsa_ieee_mode 1
		.amdhsa_fp16_overflow 0
		.amdhsa_tg_split 0
		.amdhsa_exception_fp_ieee_invalid_op 0
		.amdhsa_exception_fp_denorm_src 0
		.amdhsa_exception_fp_ieee_div_zero 0
		.amdhsa_exception_fp_ieee_overflow 0
		.amdhsa_exception_fp_ieee_underflow 0
		.amdhsa_exception_fp_ieee_inexact 0
		.amdhsa_exception_int_div_zero 0
	.end_amdhsa_kernel
	.section	.text._ZN9rocsparseL31bsrmm_large_blockdim_kernel_extILj4ELj16ELj2EllaaiiEEvb20rocsparse_direction_T3_S2_llNS_24const_host_device_scalarIT7_EEPKT2_PKS2_PKT4_S2_PKT5_llS5_PT6_ll16rocsparse_order_21rocsparse_index_base_b,"axG",@progbits,_ZN9rocsparseL31bsrmm_large_blockdim_kernel_extILj4ELj16ELj2EllaaiiEEvb20rocsparse_direction_T3_S2_llNS_24const_host_device_scalarIT7_EEPKT2_PKS2_PKT4_S2_PKT5_llS5_PT6_ll16rocsparse_order_21rocsparse_index_base_b,comdat
.Lfunc_end69:
	.size	_ZN9rocsparseL31bsrmm_large_blockdim_kernel_extILj4ELj16ELj2EllaaiiEEvb20rocsparse_direction_T3_S2_llNS_24const_host_device_scalarIT7_EEPKT2_PKS2_PKT4_S2_PKT5_llS5_PT6_ll16rocsparse_order_21rocsparse_index_base_b, .Lfunc_end69-_ZN9rocsparseL31bsrmm_large_blockdim_kernel_extILj4ELj16ELj2EllaaiiEEvb20rocsparse_direction_T3_S2_llNS_24const_host_device_scalarIT7_EEPKT2_PKS2_PKT4_S2_PKT5_llS5_PT6_ll16rocsparse_order_21rocsparse_index_base_b
                                        ; -- End function
	.set _ZN9rocsparseL31bsrmm_large_blockdim_kernel_extILj4ELj16ELj2EllaaiiEEvb20rocsparse_direction_T3_S2_llNS_24const_host_device_scalarIT7_EEPKT2_PKS2_PKT4_S2_PKT5_llS5_PT6_ll16rocsparse_order_21rocsparse_index_base_b.num_vgpr, 30
	.set _ZN9rocsparseL31bsrmm_large_blockdim_kernel_extILj4ELj16ELj2EllaaiiEEvb20rocsparse_direction_T3_S2_llNS_24const_host_device_scalarIT7_EEPKT2_PKS2_PKT4_S2_PKT5_llS5_PT6_ll16rocsparse_order_21rocsparse_index_base_b.num_agpr, 0
	.set _ZN9rocsparseL31bsrmm_large_blockdim_kernel_extILj4ELj16ELj2EllaaiiEEvb20rocsparse_direction_T3_S2_llNS_24const_host_device_scalarIT7_EEPKT2_PKS2_PKT4_S2_PKT5_llS5_PT6_ll16rocsparse_order_21rocsparse_index_base_b.numbered_sgpr, 50
	.set _ZN9rocsparseL31bsrmm_large_blockdim_kernel_extILj4ELj16ELj2EllaaiiEEvb20rocsparse_direction_T3_S2_llNS_24const_host_device_scalarIT7_EEPKT2_PKS2_PKT4_S2_PKT5_llS5_PT6_ll16rocsparse_order_21rocsparse_index_base_b.num_named_barrier, 0
	.set _ZN9rocsparseL31bsrmm_large_blockdim_kernel_extILj4ELj16ELj2EllaaiiEEvb20rocsparse_direction_T3_S2_llNS_24const_host_device_scalarIT7_EEPKT2_PKS2_PKT4_S2_PKT5_llS5_PT6_ll16rocsparse_order_21rocsparse_index_base_b.private_seg_size, 0
	.set _ZN9rocsparseL31bsrmm_large_blockdim_kernel_extILj4ELj16ELj2EllaaiiEEvb20rocsparse_direction_T3_S2_llNS_24const_host_device_scalarIT7_EEPKT2_PKS2_PKT4_S2_PKT5_llS5_PT6_ll16rocsparse_order_21rocsparse_index_base_b.uses_vcc, 1
	.set _ZN9rocsparseL31bsrmm_large_blockdim_kernel_extILj4ELj16ELj2EllaaiiEEvb20rocsparse_direction_T3_S2_llNS_24const_host_device_scalarIT7_EEPKT2_PKS2_PKT4_S2_PKT5_llS5_PT6_ll16rocsparse_order_21rocsparse_index_base_b.uses_flat_scratch, 0
	.set _ZN9rocsparseL31bsrmm_large_blockdim_kernel_extILj4ELj16ELj2EllaaiiEEvb20rocsparse_direction_T3_S2_llNS_24const_host_device_scalarIT7_EEPKT2_PKS2_PKT4_S2_PKT5_llS5_PT6_ll16rocsparse_order_21rocsparse_index_base_b.has_dyn_sized_stack, 0
	.set _ZN9rocsparseL31bsrmm_large_blockdim_kernel_extILj4ELj16ELj2EllaaiiEEvb20rocsparse_direction_T3_S2_llNS_24const_host_device_scalarIT7_EEPKT2_PKS2_PKT4_S2_PKT5_llS5_PT6_ll16rocsparse_order_21rocsparse_index_base_b.has_recursion, 0
	.set _ZN9rocsparseL31bsrmm_large_blockdim_kernel_extILj4ELj16ELj2EllaaiiEEvb20rocsparse_direction_T3_S2_llNS_24const_host_device_scalarIT7_EEPKT2_PKS2_PKT4_S2_PKT5_llS5_PT6_ll16rocsparse_order_21rocsparse_index_base_b.has_indirect_call, 0
	.section	.AMDGPU.csdata,"",@progbits
; Kernel info:
; codeLenInByte = 1840
; TotalNumSgprs: 56
; NumVgprs: 30
; NumAgprs: 0
; TotalNumVgprs: 30
; ScratchSize: 0
; MemoryBound: 0
; FloatMode: 240
; IeeeMode: 1
; LDSByteSize: 576 bytes/workgroup (compile time only)
; SGPRBlocks: 6
; VGPRBlocks: 3
; NumSGPRsForWavesPerEU: 56
; NumVGPRsForWavesPerEU: 30
; AccumOffset: 32
; Occupancy: 8
; WaveLimiterHint : 1
; COMPUTE_PGM_RSRC2:SCRATCH_EN: 0
; COMPUTE_PGM_RSRC2:USER_SGPR: 2
; COMPUTE_PGM_RSRC2:TRAP_HANDLER: 0
; COMPUTE_PGM_RSRC2:TGID_X_EN: 1
; COMPUTE_PGM_RSRC2:TGID_Y_EN: 1
; COMPUTE_PGM_RSRC2:TGID_Z_EN: 0
; COMPUTE_PGM_RSRC2:TIDIG_COMP_CNT: 1
; COMPUTE_PGM_RSRC3_GFX90A:ACCUM_OFFSET: 7
; COMPUTE_PGM_RSRC3_GFX90A:TG_SPLIT: 0
	.section	.text._ZN9rocsparseL31bsrmm_large_blockdim_kernel_extILj16ELj16ELj2EllaaiiEEvb20rocsparse_direction_T3_S2_llNS_24const_host_device_scalarIT7_EEPKT2_PKS2_PKT4_S2_PKT5_llS5_PT6_ll16rocsparse_order_21rocsparse_index_base_b,"axG",@progbits,_ZN9rocsparseL31bsrmm_large_blockdim_kernel_extILj16ELj16ELj2EllaaiiEEvb20rocsparse_direction_T3_S2_llNS_24const_host_device_scalarIT7_EEPKT2_PKS2_PKT4_S2_PKT5_llS5_PT6_ll16rocsparse_order_21rocsparse_index_base_b,comdat
	.globl	_ZN9rocsparseL31bsrmm_large_blockdim_kernel_extILj16ELj16ELj2EllaaiiEEvb20rocsparse_direction_T3_S2_llNS_24const_host_device_scalarIT7_EEPKT2_PKS2_PKT4_S2_PKT5_llS5_PT6_ll16rocsparse_order_21rocsparse_index_base_b ; -- Begin function _ZN9rocsparseL31bsrmm_large_blockdim_kernel_extILj16ELj16ELj2EllaaiiEEvb20rocsparse_direction_T3_S2_llNS_24const_host_device_scalarIT7_EEPKT2_PKS2_PKT4_S2_PKT5_llS5_PT6_ll16rocsparse_order_21rocsparse_index_base_b
	.p2align	8
	.type	_ZN9rocsparseL31bsrmm_large_blockdim_kernel_extILj16ELj16ELj2EllaaiiEEvb20rocsparse_direction_T3_S2_llNS_24const_host_device_scalarIT7_EEPKT2_PKS2_PKT4_S2_PKT5_llS5_PT6_ll16rocsparse_order_21rocsparse_index_base_b,@function
_ZN9rocsparseL31bsrmm_large_blockdim_kernel_extILj16ELj16ELj2EllaaiiEEvb20rocsparse_direction_T3_S2_llNS_24const_host_device_scalarIT7_EEPKT2_PKS2_PKT4_S2_PKT5_llS5_PT6_ll16rocsparse_order_21rocsparse_index_base_b: ; @_ZN9rocsparseL31bsrmm_large_blockdim_kernel_extILj16ELj16ELj2EllaaiiEEvb20rocsparse_direction_T3_S2_llNS_24const_host_device_scalarIT7_EEPKT2_PKS2_PKT4_S2_PKT5_llS5_PT6_ll16rocsparse_order_21rocsparse_index_base_b
; %bb.0:
	s_load_dwordx4 s[16:19], s[0:1], 0x88
	s_load_dwordx2 s[10:11], s[0:1], 0x28
	s_mov_b32 s6, s3
	s_mov_b64 s[12:13], -1
                                        ; implicit-def: $sgpr33
	s_waitcnt lgkmcnt(0)
	s_bitcmp1_b32 s18, 0
	s_cselect_b64 s[4:5], -1, 0
	s_xor_b64 s[8:9], s[4:5], -1
	s_and_b64 vcc, exec, s[8:9]
	s_cbranch_vccnz .LBB70_4
; %bb.1:
	s_load_dwordx2 s[4:5], s[0:1], 0x68
	s_andn2_b64 vcc, exec, s[12:13]
	s_cbranch_vccz .LBB70_5
.LBB70_2:
	s_and_b64 vcc, exec, s[8:9]
	s_cbranch_vccz .LBB70_6
.LBB70_3:
	s_waitcnt lgkmcnt(0)
	s_load_dword s46, s[4:5], 0x0
	s_cbranch_execz .LBB70_7
	s_branch .LBB70_8
.LBB70_4:
	s_load_dword s33, s[10:11], 0x0
	s_load_dwordx2 s[4:5], s[0:1], 0x68
	s_cbranch_execnz .LBB70_2
.LBB70_5:
	s_waitcnt lgkmcnt(0)
	s_mov_b32 s33, s10
	s_and_b64 vcc, exec, s[8:9]
	s_cbranch_vccnz .LBB70_3
.LBB70_6:
                                        ; implicit-def: $sgpr46
.LBB70_7:
	s_waitcnt lgkmcnt(0)
	s_mov_b32 s46, s4
.LBB70_8:
	s_waitcnt lgkmcnt(0)
	s_cmp_eq_u32 s33, 0
	s_cselect_b64 s[4:5], -1, 0
	s_cmp_eq_u32 s46, 1
	s_cselect_b64 s[8:9], -1, 0
	s_and_b64 s[4:5], s[4:5], s[8:9]
	s_and_b64 vcc, exec, s[4:5]
	s_cbranch_vccnz .LBB70_53
; %bb.9:
	s_load_dwordx4 s[12:15], s[0:1], 0x8
	s_load_dwordx2 s[8:9], s[0:1], 0x30
	s_ashr_i32 s3, s2, 31
	v_mov_b64_e32 v[2:3], s[2:3]
	s_mov_b64 s[28:29], 0
	s_waitcnt lgkmcnt(0)
	v_cmp_le_i64_e32 vcc, s[12:13], v[2:3]
	v_cmp_gt_i64_e64 s[4:5], s[12:13], v[2:3]
	s_mov_b64 s[30:31], 0
	s_cbranch_vccnz .LBB70_11
; %bb.10:
	s_lshl_b64 s[10:11], s[2:3], 3
	s_add_u32 s10, s8, s10
	s_addc_u32 s11, s9, s11
	s_load_dwordx2 s[10:11], s[10:11], 0x0
	s_waitcnt lgkmcnt(0)
	s_sub_u32 s30, s10, s17
	s_subb_u32 s31, s11, 0
.LBB70_11:
	s_andn2_b64 vcc, exec, s[4:5]
	s_cbranch_vccnz .LBB70_13
; %bb.12:
	s_lshl_b64 s[10:11], s[2:3], 3
	s_add_u32 s8, s8, s10
	s_addc_u32 s9, s9, s11
	s_load_dwordx2 s[8:9], s[8:9], 0x8
	s_waitcnt lgkmcnt(0)
	s_sub_u32 s28, s8, s17
	s_subb_u32 s29, s9, 0
.LBB70_13:
	s_load_dwordx2 s[18:19], s[0:1], 0x70
	s_load_dwordx2 s[34:35], s[0:1], 0x48
	v_bfe_u32 v10, v0, 10, 10
	v_lshl_add_u32 v4, s6, 5, v10
	v_mov_b32_e32 v5, 0
	v_and_b32_e32 v6, 0x3ff, v0
	v_mov_b64_e32 v[0:1], s[28:29]
	v_add_u32_e32 v2, 16, v4
	v_mov_b32_e32 v3, v5
	v_mov_b32_e32 v7, v5
	v_cmp_ge_i64_e32 vcc, s[30:31], v[0:1]
	s_waitcnt lgkmcnt(0)
	v_cmp_gt_i64_e64 s[6:7], s[34:35], v[6:7]
	v_cmp_gt_i64_e64 s[8:9], s[14:15], v[4:5]
	;; [unrolled: 1-line block ×3, first 2 shown]
	s_cbranch_vccnz .LBB70_32
; %bb.14:
	s_load_dwordx4 s[24:27], s[0:1], 0x38
	s_load_dwordx2 s[38:39], s[0:1], 0x0
	v_mov_b32_e32 v0, 0x800
	v_lshl_add_u32 v18, v10, 2, v0
	s_load_dwordx4 s[20:23], s[0:1], 0x50
	s_waitcnt lgkmcnt(0)
	v_mov_b64_e32 v[0:1], s[26:27]
	v_mad_u64_u32 v[12:13], s[26:27], s34, v10, v[0:1]
	v_mov_b32_e32 v14, v13
	v_mad_u64_u32 v[14:15], s[26:27], s35, v10, v[14:15]
	v_mov_b32_e32 v13, v14
	v_mad_u64_u32 v[0:1], s[26:27], s34, v6, v[0:1]
	v_lshl_add_u64 v[14:15], v[12:13], 0, v[6:7]
	v_mov_b32_e32 v12, v1
	v_mad_u64_u32 v[12:13], s[26:27], s35, v6, v[12:13]
	v_mov_b32_e32 v11, v5
	v_mov_b32_e32 v1, v12
	s_mul_i32 s3, s34, s35
	s_mul_hi_u32 s12, s34, s34
	v_cmp_gt_i64_e32 vcc, s[34:35], v[10:11]
	v_lshlrev_b32_e32 v20, 6, v10
	v_lshl_add_u64 v[0:1], v[0:1], 0, v[10:11]
	v_mad_u64_u32 v[10:11], s[26:27], s22, v4, 0
	s_add_i32 s12, s12, s3
	v_mov_b32_e32 v12, v11
	s_add_i32 s3, s12, s3
	s_and_b64 s[36:37], s[6:7], vcc
	v_mad_u64_u32 v[12:13], s[26:27], s23, v4, v[12:13]
	s_bitcmp1_b32 s38, 0
	v_mov_b32_e32 v11, v12
	v_mad_u64_u32 v[12:13], s[26:27], s22, v2, 0
	s_cselect_b64 s[12:13], -1, 0
	s_cmp_eq_u32 s39, 0
	v_mov_b32_e32 v16, v13
	v_lshlrev_b32_e32 v19, 2, v6
	s_cselect_b64 vcc, -1, 0
	v_lshlrev_b32_e32 v23, 6, v6
	v_cmp_gt_i64_e64 s[38:39], s[34:35], 0
	v_mad_u64_u32 v[16:17], s[26:27], s23, v2, v[16:17]
	s_mul_i32 s47, s34, s34
	v_lshl_add_u64 v[8:9], s[20:21], 0, v[6:7]
	v_mov_b32_e32 v13, v16
	s_and_b64 s[26:27], s[8:9], s[38:39]
	s_and_b64 s[38:39], s[10:11], s[38:39]
	v_cndmask_b32_e32 v15, v15, v1, vcc
	v_cndmask_b32_e32 v14, v14, v0, vcc
	v_add_u32_e32 v21, 0x800, v23
	v_add_u32_e32 v22, 0x400, v20
	v_mov_b32_e32 v0, v5
	v_mov_b32_e32 v1, v5
	v_add_u32_e32 v23, v18, v23
	v_add_u32_e32 v24, v19, v20
	s_branch .LBB70_17
.LBB70_15:                              ;   in Loop: Header=BB70_17 Depth=1
	s_or_b64 exec, exec, s[42:43]
.LBB70_16:                              ;   in Loop: Header=BB70_17 Depth=1
	s_or_b64 exec, exec, s[40:41]
	s_add_u32 s30, s30, 1
	s_addc_u32 s31, s31, 0
	v_mov_b64_e32 v[16:17], s[28:29]
	v_cmp_ge_i64_e32 vcc, s[30:31], v[16:17]
	s_barrier
	s_cbranch_vccnz .LBB70_33
.LBB70_17:                              ; =>This Loop Header: Depth=1
                                        ;     Child Loop BB70_27 Depth 2
                                        ;     Child Loop BB70_31 Depth 2
	s_and_saveexec_b64 s[40:41], s[6:7]
	s_cbranch_execz .LBB70_22
; %bb.18:                               ;   in Loop: Header=BB70_17 Depth=1
	s_lshl_b64 s[42:43], s[30:31], 3
	s_add_u32 s42, s24, s42
	s_addc_u32 s43, s25, s43
	s_load_dwordx2 s[42:43], s[42:43], 0x0
	v_mov_b32_e32 v25, s34
	v_mov_b64_e32 v[18:19], s[20:21]
	s_waitcnt lgkmcnt(0)
	s_sub_u32 s44, s42, s17
	s_subb_u32 s45, s43, 0
	v_mad_u64_u32 v[16:17], s[42:43], s44, v25, v[6:7]
	s_mul_i32 s42, s44, s35
	s_mul_i32 s45, s45, s34
	s_add_i32 s45, s42, s45
	v_add_u32_e32 v17, s45, v17
	v_mul_lo_u32 v26, v17, s22
	v_mul_lo_u32 v27, v16, s23
	v_mad_u64_u32 v[16:17], s[42:43], v16, s22, v[18:19]
	v_mad_u64_u32 v[18:19], s[42:43], s44, v25, v[8:9]
	v_add3_u32 v17, v26, v17, v27
	v_add_u32_e32 v19, s45, v19
	s_and_saveexec_b64 s[42:43], s[8:9]
	s_cbranch_execz .LBB70_20
; %bb.19:                               ;   in Loop: Header=BB70_17 Depth=1
	v_lshl_add_u64 v[26:27], v[16:17], 0, v[4:5]
	v_lshl_add_u64 v[28:29], v[18:19], 0, v[10:11]
	v_cndmask_b32_e64 v27, v27, v29, s[12:13]
	v_cndmask_b32_e64 v26, v26, v28, s[12:13]
	global_load_sbyte v25, v[26:27], off
	s_waitcnt vmcnt(0)
	ds_write_b32 v24, v25
.LBB70_20:                              ;   in Loop: Header=BB70_17 Depth=1
	s_or_b64 exec, exec, s[42:43]
	s_and_b64 exec, exec, s[10:11]
	s_cbranch_execz .LBB70_22
; %bb.21:                               ;   in Loop: Header=BB70_17 Depth=1
	v_lshl_add_u64 v[18:19], v[18:19], 0, v[12:13]
	v_lshl_add_u64 v[16:17], v[16:17], 0, v[2:3]
	v_cndmask_b32_e64 v17, v17, v19, s[12:13]
	v_cndmask_b32_e64 v16, v16, v18, s[12:13]
	global_load_sbyte v16, v[16:17], off
	s_waitcnt vmcnt(0)
	ds_write_b32 v24, v16 offset:1024
.LBB70_22:                              ;   in Loop: Header=BB70_17 Depth=1
	s_or_b64 exec, exec, s[40:41]
	s_and_saveexec_b64 s[40:41], s[36:37]
	s_cbranch_execz .LBB70_24
; %bb.23:                               ;   in Loop: Header=BB70_17 Depth=1
	s_mul_i32 s42, s3, s30
	s_mul_i32 s43, s47, s31
	v_mov_b32_e32 v16, s30
	s_add_i32 s44, s43, s42
	v_mad_u64_u32 v[16:17], s[42:43], s47, v16, v[14:15]
	v_add_u32_e32 v17, s44, v17
	global_load_sbyte v16, v[16:17], off
	s_waitcnt vmcnt(0)
	ds_write_b32 v23, v16
.LBB70_24:                              ;   in Loop: Header=BB70_17 Depth=1
	s_or_b64 exec, exec, s[40:41]
	s_waitcnt lgkmcnt(0)
	s_barrier
	s_and_saveexec_b64 s[40:41], s[6:7]
	s_cbranch_execz .LBB70_16
; %bb.25:                               ;   in Loop: Header=BB70_17 Depth=1
	s_and_saveexec_b64 s[42:43], s[26:27]
	s_cbranch_execz .LBB70_29
; %bb.26:                               ;   in Loop: Header=BB70_17 Depth=1
	v_mov_b32_e32 v18, v21
	v_mov_b32_e32 v19, v20
	s_mov_b64 s[44:45], s[34:35]
.LBB70_27:                              ;   Parent Loop BB70_17 Depth=1
                                        ; =>  This Inner Loop Header: Depth=2
	ds_read_b32 v16, v18
	ds_read_b32 v17, v19
	s_add_u32 s44, s44, -1
	s_addc_u32 s45, s45, -1
	v_add_u32_e32 v19, 4, v19
	v_add_u32_e32 v18, 4, v18
	s_waitcnt lgkmcnt(0)
	v_mad_u64_u32 v[16:17], s[48:49], v17, v16, v[0:1]
	v_mov_b32_e32 v17, v1
	s_cmp_lg_u64 s[44:45], 0
	v_mov_b64_e32 v[0:1], v[16:17]
	s_cbranch_scc1 .LBB70_27
; %bb.28:                               ;   in Loop: Header=BB70_17 Depth=1
	v_mov_b64_e32 v[0:1], v[16:17]
.LBB70_29:                              ;   in Loop: Header=BB70_17 Depth=1
	s_or_b64 exec, exec, s[42:43]
	s_and_saveexec_b64 s[42:43], s[38:39]
	s_cbranch_execz .LBB70_15
; %bb.30:                               ;   in Loop: Header=BB70_17 Depth=1
	v_mov_b32_e32 v16, v21
	v_mov_b32_e32 v17, v22
	s_mov_b64 s[44:45], s[34:35]
.LBB70_31:                              ;   Parent Loop BB70_17 Depth=1
                                        ; =>  This Inner Loop Header: Depth=2
	ds_read_b32 v19, v16
	ds_read_b32 v25, v17
	v_mov_b32_e32 v18, v1
	s_add_u32 s44, s44, -1
	s_addc_u32 s45, s45, -1
	v_add_u32_e32 v17, 4, v17
	s_waitcnt lgkmcnt(0)
	v_mad_u64_u32 v[18:19], s[48:49], v25, v19, v[18:19]
	v_add_u32_e32 v16, 4, v16
	s_cmp_lg_u64 s[44:45], 0
	v_mov_b32_e32 v1, v18
	s_cbranch_scc1 .LBB70_31
	s_branch .LBB70_15
.LBB70_32:
	v_mov_b32_e32 v0, v5
	v_mov_b32_e32 v1, v5
.LBB70_33:
	s_and_b64 s[4:5], s[4:5], s[6:7]
	s_and_saveexec_b64 s[6:7], s[4:5]
	s_cbranch_execz .LBB70_53
; %bb.34:
	v_mov_b32_e32 v8, s2
	v_mad_u64_u32 v[6:7], s[4:5], s34, v8, v[6:7]
	s_mul_i32 s2, s35, s2
	v_add_u32_e32 v7, s2, v7
	s_load_dwordx2 s[2:3], s[0:1], 0x78
	s_cmp_lg_u32 s46, 0
	s_cselect_b64 s[0:1], -1, 0
	s_cmp_lg_u32 s16, 1
	s_cselect_b64 s[4:5], -1, 0
	s_waitcnt lgkmcnt(0)
	v_mul_lo_u32 v10, s3, v6
	v_mul_lo_u32 v11, s2, v7
	v_mad_u64_u32 v[8:9], s[6:7], s2, v6, 0
	v_add3_u32 v9, v9, v11, v10
	v_lshl_add_u64 v[8:9], v[8:9], 2, s[18:19]
	v_lshl_add_u64 v[6:7], v[6:7], 2, s[18:19]
	v_cmp_gt_i64_e32 vcc, s[14:15], v[4:5]
	s_and_saveexec_b64 s[6:7], vcc
	s_cbranch_execz .LBB70_46
; %bb.35:
	s_mov_b64 s[8:9], -1
	s_and_b64 vcc, exec, s[0:1]
	s_cbranch_vccz .LBB70_41
; %bb.36:
	s_and_b64 vcc, exec, s[4:5]
	s_cbranch_vccz .LBB70_38
; %bb.37:
	v_lshl_add_u64 v[10:11], v[4:5], 2, v[8:9]
	global_load_dword v13, v[10:11], off
	v_mul_lo_u32 v12, v0, s33
	s_waitcnt vmcnt(0)
	v_mad_u64_u32 v[12:13], s[8:9], v13, s46, v[12:13]
	global_store_dword v[10:11], v12, off
	s_mov_b64 s[8:9], 0
.LBB70_38:
	s_andn2_b64 vcc, exec, s[8:9]
	s_cbranch_vccnz .LBB70_40
; %bb.39:
	v_mad_u64_u32 v[10:11], s[8:9], s2, v4, 0
	v_mov_b32_e32 v12, v11
	v_mad_u64_u32 v[12:13], s[8:9], s3, v4, v[12:13]
	v_mov_b32_e32 v11, v12
	v_lshl_add_u64 v[10:11], v[10:11], 2, v[6:7]
	global_load_dword v13, v[10:11], off
	v_mul_lo_u32 v12, v0, s33
	s_waitcnt vmcnt(0)
	v_mad_u64_u32 v[12:13], s[8:9], v13, s46, v[12:13]
	global_store_dword v[10:11], v12, off
.LBB70_40:
	s_mov_b64 s[8:9], 0
.LBB70_41:
	s_andn2_b64 vcc, exec, s[8:9]
	s_cbranch_vccnz .LBB70_46
; %bb.42:
	v_mul_lo_u32 v0, v0, s33
	s_mov_b64 s[8:9], -1
	s_and_b64 vcc, exec, s[4:5]
	s_cbranch_vccz .LBB70_44
; %bb.43:
	v_lshl_add_u64 v[10:11], v[4:5], 2, v[8:9]
	global_store_dword v[10:11], v0, off
	s_mov_b64 s[8:9], 0
.LBB70_44:
	s_andn2_b64 vcc, exec, s[8:9]
	s_cbranch_vccnz .LBB70_46
; %bb.45:
	v_mad_u64_u32 v[10:11], s[8:9], s2, v4, 0
	v_mov_b32_e32 v12, v11
	v_mad_u64_u32 v[4:5], s[8:9], s3, v4, v[12:13]
	v_mov_b32_e32 v11, v4
	v_lshl_add_u64 v[4:5], v[10:11], 2, v[6:7]
	global_store_dword v[4:5], v0, off
.LBB70_46:
	s_or_b64 exec, exec, s[6:7]
	v_cmp_gt_i64_e32 vcc, s[14:15], v[2:3]
	s_and_b64 exec, exec, vcc
	s_cbranch_execz .LBB70_53
; %bb.47:
	v_cndmask_b32_e64 v0, 0, 1, s[4:5]
	s_andn2_b64 vcc, exec, s[0:1]
	v_cmp_ne_u32_e64 s[0:1], 1, v0
	s_cbranch_vccnz .LBB70_54
; %bb.48:
	s_and_b64 vcc, exec, s[0:1]
	s_mov_b64 s[4:5], -1
	s_cbranch_vccnz .LBB70_50
; %bb.49:
	v_lshl_add_u64 v[4:5], v[2:3], 2, v[8:9]
	global_load_dword v10, v[4:5], off
	v_mul_lo_u32 v0, v1, s33
	s_waitcnt vmcnt(0)
	v_mad_u64_u32 v[10:11], s[4:5], v10, s46, v[0:1]
	s_mov_b64 s[4:5], 0
	global_store_dword v[4:5], v10, off
.LBB70_50:
	s_andn2_b64 vcc, exec, s[4:5]
	s_cbranch_vccnz .LBB70_52
; %bb.51:
	v_mad_u64_u32 v[4:5], s[4:5], s2, v2, 0
	v_mov_b32_e32 v0, v5
	v_mad_u64_u32 v[10:11], s[4:5], s3, v2, v[0:1]
	v_mov_b32_e32 v5, v10
	v_lshl_add_u64 v[4:5], v[4:5], 2, v[6:7]
	global_load_dword v10, v[4:5], off
	v_mul_lo_u32 v0, v1, s33
	s_waitcnt vmcnt(0)
	v_mad_u64_u32 v[10:11], s[4:5], v10, s46, v[0:1]
	global_store_dword v[4:5], v10, off
.LBB70_52:
	s_cbranch_execz .LBB70_55
.LBB70_53:
	s_endpgm
.LBB70_54:
.LBB70_55:
	v_mul_lo_u32 v0, v1, s33
	s_and_b64 vcc, exec, s[0:1]
	s_mov_b64 s[0:1], -1
	s_cbranch_vccnz .LBB70_57
; %bb.56:
	v_lshl_add_u64 v[4:5], v[2:3], 2, v[8:9]
	s_mov_b64 s[0:1], 0
	global_store_dword v[4:5], v0, off
.LBB70_57:
	s_andn2_b64 vcc, exec, s[0:1]
	s_cbranch_vccnz .LBB70_53
; %bb.58:
	v_mad_u64_u32 v[4:5], s[0:1], s2, v2, 0
	v_mov_b32_e32 v8, v5
	v_mad_u64_u32 v[2:3], s[0:1], s3, v2, v[8:9]
	v_mov_b32_e32 v5, v2
	v_lshl_add_u64 v[2:3], v[4:5], 2, v[6:7]
	global_store_dword v[2:3], v0, off
	s_endpgm
	.section	.rodata,"a",@progbits
	.p2align	6, 0x0
	.amdhsa_kernel _ZN9rocsparseL31bsrmm_large_blockdim_kernel_extILj16ELj16ELj2EllaaiiEEvb20rocsparse_direction_T3_S2_llNS_24const_host_device_scalarIT7_EEPKT2_PKS2_PKT4_S2_PKT5_llS5_PT6_ll16rocsparse_order_21rocsparse_index_base_b
		.amdhsa_group_segment_fixed_size 3072
		.amdhsa_private_segment_fixed_size 0
		.amdhsa_kernarg_size 148
		.amdhsa_user_sgpr_count 2
		.amdhsa_user_sgpr_dispatch_ptr 0
		.amdhsa_user_sgpr_queue_ptr 0
		.amdhsa_user_sgpr_kernarg_segment_ptr 1
		.amdhsa_user_sgpr_dispatch_id 0
		.amdhsa_user_sgpr_kernarg_preload_length 0
		.amdhsa_user_sgpr_kernarg_preload_offset 0
		.amdhsa_user_sgpr_private_segment_size 0
		.amdhsa_uses_dynamic_stack 0
		.amdhsa_enable_private_segment 0
		.amdhsa_system_sgpr_workgroup_id_x 1
		.amdhsa_system_sgpr_workgroup_id_y 1
		.amdhsa_system_sgpr_workgroup_id_z 0
		.amdhsa_system_sgpr_workgroup_info 0
		.amdhsa_system_vgpr_workitem_id 1
		.amdhsa_next_free_vgpr 30
		.amdhsa_next_free_sgpr 50
		.amdhsa_accum_offset 32
		.amdhsa_reserve_vcc 1
		.amdhsa_float_round_mode_32 0
		.amdhsa_float_round_mode_16_64 0
		.amdhsa_float_denorm_mode_32 3
		.amdhsa_float_denorm_mode_16_64 3
		.amdhsa_dx10_clamp 1
		.amdhsa_ieee_mode 1
		.amdhsa_fp16_overflow 0
		.amdhsa_tg_split 0
		.amdhsa_exception_fp_ieee_invalid_op 0
		.amdhsa_exception_fp_denorm_src 0
		.amdhsa_exception_fp_ieee_div_zero 0
		.amdhsa_exception_fp_ieee_overflow 0
		.amdhsa_exception_fp_ieee_underflow 0
		.amdhsa_exception_fp_ieee_inexact 0
		.amdhsa_exception_int_div_zero 0
	.end_amdhsa_kernel
	.section	.text._ZN9rocsparseL31bsrmm_large_blockdim_kernel_extILj16ELj16ELj2EllaaiiEEvb20rocsparse_direction_T3_S2_llNS_24const_host_device_scalarIT7_EEPKT2_PKS2_PKT4_S2_PKT5_llS5_PT6_ll16rocsparse_order_21rocsparse_index_base_b,"axG",@progbits,_ZN9rocsparseL31bsrmm_large_blockdim_kernel_extILj16ELj16ELj2EllaaiiEEvb20rocsparse_direction_T3_S2_llNS_24const_host_device_scalarIT7_EEPKT2_PKS2_PKT4_S2_PKT5_llS5_PT6_ll16rocsparse_order_21rocsparse_index_base_b,comdat
.Lfunc_end70:
	.size	_ZN9rocsparseL31bsrmm_large_blockdim_kernel_extILj16ELj16ELj2EllaaiiEEvb20rocsparse_direction_T3_S2_llNS_24const_host_device_scalarIT7_EEPKT2_PKS2_PKT4_S2_PKT5_llS5_PT6_ll16rocsparse_order_21rocsparse_index_base_b, .Lfunc_end70-_ZN9rocsparseL31bsrmm_large_blockdim_kernel_extILj16ELj16ELj2EllaaiiEEvb20rocsparse_direction_T3_S2_llNS_24const_host_device_scalarIT7_EEPKT2_PKS2_PKT4_S2_PKT5_llS5_PT6_ll16rocsparse_order_21rocsparse_index_base_b
                                        ; -- End function
	.set _ZN9rocsparseL31bsrmm_large_blockdim_kernel_extILj16ELj16ELj2EllaaiiEEvb20rocsparse_direction_T3_S2_llNS_24const_host_device_scalarIT7_EEPKT2_PKS2_PKT4_S2_PKT5_llS5_PT6_ll16rocsparse_order_21rocsparse_index_base_b.num_vgpr, 30
	.set _ZN9rocsparseL31bsrmm_large_blockdim_kernel_extILj16ELj16ELj2EllaaiiEEvb20rocsparse_direction_T3_S2_llNS_24const_host_device_scalarIT7_EEPKT2_PKS2_PKT4_S2_PKT5_llS5_PT6_ll16rocsparse_order_21rocsparse_index_base_b.num_agpr, 0
	.set _ZN9rocsparseL31bsrmm_large_blockdim_kernel_extILj16ELj16ELj2EllaaiiEEvb20rocsparse_direction_T3_S2_llNS_24const_host_device_scalarIT7_EEPKT2_PKS2_PKT4_S2_PKT5_llS5_PT6_ll16rocsparse_order_21rocsparse_index_base_b.numbered_sgpr, 50
	.set _ZN9rocsparseL31bsrmm_large_blockdim_kernel_extILj16ELj16ELj2EllaaiiEEvb20rocsparse_direction_T3_S2_llNS_24const_host_device_scalarIT7_EEPKT2_PKS2_PKT4_S2_PKT5_llS5_PT6_ll16rocsparse_order_21rocsparse_index_base_b.num_named_barrier, 0
	.set _ZN9rocsparseL31bsrmm_large_blockdim_kernel_extILj16ELj16ELj2EllaaiiEEvb20rocsparse_direction_T3_S2_llNS_24const_host_device_scalarIT7_EEPKT2_PKS2_PKT4_S2_PKT5_llS5_PT6_ll16rocsparse_order_21rocsparse_index_base_b.private_seg_size, 0
	.set _ZN9rocsparseL31bsrmm_large_blockdim_kernel_extILj16ELj16ELj2EllaaiiEEvb20rocsparse_direction_T3_S2_llNS_24const_host_device_scalarIT7_EEPKT2_PKS2_PKT4_S2_PKT5_llS5_PT6_ll16rocsparse_order_21rocsparse_index_base_b.uses_vcc, 1
	.set _ZN9rocsparseL31bsrmm_large_blockdim_kernel_extILj16ELj16ELj2EllaaiiEEvb20rocsparse_direction_T3_S2_llNS_24const_host_device_scalarIT7_EEPKT2_PKS2_PKT4_S2_PKT5_llS5_PT6_ll16rocsparse_order_21rocsparse_index_base_b.uses_flat_scratch, 0
	.set _ZN9rocsparseL31bsrmm_large_blockdim_kernel_extILj16ELj16ELj2EllaaiiEEvb20rocsparse_direction_T3_S2_llNS_24const_host_device_scalarIT7_EEPKT2_PKS2_PKT4_S2_PKT5_llS5_PT6_ll16rocsparse_order_21rocsparse_index_base_b.has_dyn_sized_stack, 0
	.set _ZN9rocsparseL31bsrmm_large_blockdim_kernel_extILj16ELj16ELj2EllaaiiEEvb20rocsparse_direction_T3_S2_llNS_24const_host_device_scalarIT7_EEPKT2_PKS2_PKT4_S2_PKT5_llS5_PT6_ll16rocsparse_order_21rocsparse_index_base_b.has_recursion, 0
	.set _ZN9rocsparseL31bsrmm_large_blockdim_kernel_extILj16ELj16ELj2EllaaiiEEvb20rocsparse_direction_T3_S2_llNS_24const_host_device_scalarIT7_EEPKT2_PKS2_PKT4_S2_PKT5_llS5_PT6_ll16rocsparse_order_21rocsparse_index_base_b.has_indirect_call, 0
	.section	.AMDGPU.csdata,"",@progbits
; Kernel info:
; codeLenInByte = 1848
; TotalNumSgprs: 56
; NumVgprs: 30
; NumAgprs: 0
; TotalNumVgprs: 30
; ScratchSize: 0
; MemoryBound: 0
; FloatMode: 240
; IeeeMode: 1
; LDSByteSize: 3072 bytes/workgroup (compile time only)
; SGPRBlocks: 6
; VGPRBlocks: 3
; NumSGPRsForWavesPerEU: 56
; NumVGPRsForWavesPerEU: 30
; AccumOffset: 32
; Occupancy: 8
; WaveLimiterHint : 1
; COMPUTE_PGM_RSRC2:SCRATCH_EN: 0
; COMPUTE_PGM_RSRC2:USER_SGPR: 2
; COMPUTE_PGM_RSRC2:TRAP_HANDLER: 0
; COMPUTE_PGM_RSRC2:TGID_X_EN: 1
; COMPUTE_PGM_RSRC2:TGID_Y_EN: 1
; COMPUTE_PGM_RSRC2:TGID_Z_EN: 0
; COMPUTE_PGM_RSRC2:TIDIG_COMP_CNT: 1
; COMPUTE_PGM_RSRC3_GFX90A:ACCUM_OFFSET: 7
; COMPUTE_PGM_RSRC3_GFX90A:TG_SPLIT: 0
	.section	.text._ZN9rocsparseL31bsrmm_large_blockdim_kernel_extILj32ELj32ELj2EllaaiiEEvb20rocsparse_direction_T3_S2_llNS_24const_host_device_scalarIT7_EEPKT2_PKS2_PKT4_S2_PKT5_llS5_PT6_ll16rocsparse_order_21rocsparse_index_base_b,"axG",@progbits,_ZN9rocsparseL31bsrmm_large_blockdim_kernel_extILj32ELj32ELj2EllaaiiEEvb20rocsparse_direction_T3_S2_llNS_24const_host_device_scalarIT7_EEPKT2_PKS2_PKT4_S2_PKT5_llS5_PT6_ll16rocsparse_order_21rocsparse_index_base_b,comdat
	.globl	_ZN9rocsparseL31bsrmm_large_blockdim_kernel_extILj32ELj32ELj2EllaaiiEEvb20rocsparse_direction_T3_S2_llNS_24const_host_device_scalarIT7_EEPKT2_PKS2_PKT4_S2_PKT5_llS5_PT6_ll16rocsparse_order_21rocsparse_index_base_b ; -- Begin function _ZN9rocsparseL31bsrmm_large_blockdim_kernel_extILj32ELj32ELj2EllaaiiEEvb20rocsparse_direction_T3_S2_llNS_24const_host_device_scalarIT7_EEPKT2_PKS2_PKT4_S2_PKT5_llS5_PT6_ll16rocsparse_order_21rocsparse_index_base_b
	.p2align	8
	.type	_ZN9rocsparseL31bsrmm_large_blockdim_kernel_extILj32ELj32ELj2EllaaiiEEvb20rocsparse_direction_T3_S2_llNS_24const_host_device_scalarIT7_EEPKT2_PKS2_PKT4_S2_PKT5_llS5_PT6_ll16rocsparse_order_21rocsparse_index_base_b,@function
_ZN9rocsparseL31bsrmm_large_blockdim_kernel_extILj32ELj32ELj2EllaaiiEEvb20rocsparse_direction_T3_S2_llNS_24const_host_device_scalarIT7_EEPKT2_PKS2_PKT4_S2_PKT5_llS5_PT6_ll16rocsparse_order_21rocsparse_index_base_b: ; @_ZN9rocsparseL31bsrmm_large_blockdim_kernel_extILj32ELj32ELj2EllaaiiEEvb20rocsparse_direction_T3_S2_llNS_24const_host_device_scalarIT7_EEPKT2_PKS2_PKT4_S2_PKT5_llS5_PT6_ll16rocsparse_order_21rocsparse_index_base_b
; %bb.0:
	s_load_dwordx4 s[16:19], s[0:1], 0x88
	s_load_dwordx2 s[10:11], s[0:1], 0x28
	s_mov_b32 s6, s3
	s_mov_b64 s[12:13], -1
                                        ; implicit-def: $sgpr33
	s_waitcnt lgkmcnt(0)
	s_bitcmp1_b32 s18, 0
	s_cselect_b64 s[4:5], -1, 0
	s_xor_b64 s[8:9], s[4:5], -1
	s_and_b64 vcc, exec, s[8:9]
	s_cbranch_vccnz .LBB71_4
; %bb.1:
	s_load_dwordx2 s[4:5], s[0:1], 0x68
	s_andn2_b64 vcc, exec, s[12:13]
	s_cbranch_vccz .LBB71_5
.LBB71_2:
	s_and_b64 vcc, exec, s[8:9]
	s_cbranch_vccz .LBB71_6
.LBB71_3:
	s_waitcnt lgkmcnt(0)
	s_load_dword s44, s[4:5], 0x0
	s_cbranch_execz .LBB71_7
	s_branch .LBB71_8
.LBB71_4:
	s_load_dword s33, s[10:11], 0x0
	s_load_dwordx2 s[4:5], s[0:1], 0x68
	s_cbranch_execnz .LBB71_2
.LBB71_5:
	s_waitcnt lgkmcnt(0)
	s_mov_b32 s33, s10
	s_and_b64 vcc, exec, s[8:9]
	s_cbranch_vccnz .LBB71_3
.LBB71_6:
                                        ; implicit-def: $sgpr44
.LBB71_7:
	s_waitcnt lgkmcnt(0)
	s_mov_b32 s44, s4
.LBB71_8:
	s_waitcnt lgkmcnt(0)
	s_cmp_eq_u32 s33, 0
	s_cselect_b64 s[4:5], -1, 0
	s_cmp_eq_u32 s44, 1
	s_cselect_b64 s[8:9], -1, 0
	s_and_b64 s[4:5], s[4:5], s[8:9]
	s_and_b64 vcc, exec, s[4:5]
	s_cbranch_vccnz .LBB71_53
; %bb.9:
	s_load_dwordx4 s[12:15], s[0:1], 0x8
	s_load_dwordx2 s[8:9], s[0:1], 0x30
	s_ashr_i32 s3, s2, 31
	v_mov_b64_e32 v[2:3], s[2:3]
	s_mov_b64 s[38:39], 0
	s_waitcnt lgkmcnt(0)
	v_cmp_le_i64_e32 vcc, s[12:13], v[2:3]
	v_cmp_gt_i64_e64 s[4:5], s[12:13], v[2:3]
	s_mov_b64 s[28:29], 0
	s_cbranch_vccnz .LBB71_11
; %bb.10:
	s_lshl_b64 s[10:11], s[2:3], 3
	s_add_u32 s10, s8, s10
	s_addc_u32 s11, s9, s11
	s_load_dwordx2 s[10:11], s[10:11], 0x0
	s_waitcnt lgkmcnt(0)
	s_sub_u32 s28, s10, s17
	s_subb_u32 s29, s11, 0
.LBB71_11:
	s_andn2_b64 vcc, exec, s[4:5]
	s_cbranch_vccnz .LBB71_13
; %bb.12:
	s_lshl_b64 s[10:11], s[2:3], 3
	s_add_u32 s8, s8, s10
	s_addc_u32 s9, s9, s11
	s_load_dwordx2 s[8:9], s[8:9], 0x8
	s_waitcnt lgkmcnt(0)
	s_sub_u32 s38, s8, s17
	s_subb_u32 s39, s9, 0
.LBB71_13:
	s_load_dwordx2 s[18:19], s[0:1], 0x70
	s_load_dwordx2 s[30:31], s[0:1], 0x48
	v_bfe_u32 v10, v0, 10, 10
	v_lshl_add_u32 v4, s6, 6, v10
	v_mov_b32_e32 v5, 0
	v_and_b32_e32 v6, 0x3ff, v0
	v_mov_b64_e32 v[0:1], s[38:39]
	v_add_u32_e32 v2, 32, v4
	v_mov_b32_e32 v3, v5
	v_mov_b32_e32 v7, v5
	v_cmp_ge_i64_e32 vcc, s[28:29], v[0:1]
	s_waitcnt lgkmcnt(0)
	v_cmp_gt_i64_e64 s[6:7], s[30:31], v[6:7]
	v_cmp_gt_i64_e64 s[8:9], s[14:15], v[4:5]
	;; [unrolled: 1-line block ×3, first 2 shown]
	s_cbranch_vccnz .LBB71_32
; %bb.14:
	s_load_dwordx4 s[24:27], s[0:1], 0x38
	s_load_dwordx2 s[36:37], s[0:1], 0x0
	v_mov_b32_e32 v0, 0x2000
	v_lshl_add_u32 v18, v10, 2, v0
	s_load_dwordx4 s[20:23], s[0:1], 0x50
	s_waitcnt lgkmcnt(0)
	v_mov_b64_e32 v[0:1], s[26:27]
	v_mad_u64_u32 v[12:13], s[26:27], s30, v10, v[0:1]
	v_mov_b32_e32 v14, v13
	v_mad_u64_u32 v[14:15], s[26:27], s31, v10, v[14:15]
	v_mov_b32_e32 v13, v14
	v_mad_u64_u32 v[0:1], s[26:27], s30, v6, v[0:1]
	v_lshl_add_u64 v[14:15], v[12:13], 0, v[6:7]
	v_mov_b32_e32 v12, v1
	v_mad_u64_u32 v[12:13], s[26:27], s31, v6, v[12:13]
	v_mov_b32_e32 v11, v5
	v_mov_b32_e32 v1, v12
	s_mul_i32 s3, s30, s31
	s_mul_hi_u32 s12, s30, s30
	v_cmp_gt_i64_e32 vcc, s[30:31], v[10:11]
	v_lshlrev_b32_e32 v22, 7, v10
	v_lshl_add_u64 v[0:1], v[0:1], 0, v[10:11]
	v_mad_u64_u32 v[10:11], s[26:27], s22, v4, 0
	s_add_i32 s12, s12, s3
	v_mov_b32_e32 v12, v11
	s_add_i32 s3, s12, s3
	s_and_b64 s[34:35], s[6:7], vcc
	v_mad_u64_u32 v[12:13], s[26:27], s23, v4, v[12:13]
	s_bitcmp1_b32 s36, 0
	v_mov_b32_e32 v11, v12
	v_mad_u64_u32 v[12:13], s[26:27], s22, v2, 0
	s_cselect_b64 s[12:13], -1, 0
	s_cmp_eq_u32 s37, 0
	v_mov_b32_e32 v16, v13
	v_lshlrev_b32_e32 v19, 2, v6
	s_cselect_b64 vcc, -1, 0
	v_lshlrev_b32_e32 v20, 7, v6
	v_cmp_gt_i64_e64 s[36:37], s[30:31], 0
	v_mad_u64_u32 v[16:17], s[26:27], s23, v2, v[16:17]
	s_mul_i32 s45, s30, s30
	v_lshl_add_u64 v[8:9], s[20:21], 0, v[6:7]
	v_mov_b32_e32 v13, v16
	s_and_b64 s[26:27], s[8:9], s[36:37]
	s_and_b64 s[36:37], s[10:11], s[36:37]
	v_cndmask_b32_e32 v15, v15, v1, vcc
	v_cndmask_b32_e32 v14, v14, v0, vcc
	v_add_u32_e32 v23, 0x2000, v20
	v_add_u32_e32 v24, 0x1000, v22
	v_mov_b32_e32 v0, v5
	v_mov_b32_e32 v1, v5
	v_add_u32_e32 v25, v19, v22
	v_add_u32_e32 v26, v18, v20
	v_mov_b64_e32 v[16:17], s[38:39]
	s_branch .LBB71_17
.LBB71_15:                              ;   in Loop: Header=BB71_17 Depth=1
	s_or_b64 exec, exec, s[40:41]
.LBB71_16:                              ;   in Loop: Header=BB71_17 Depth=1
	s_or_b64 exec, exec, s[38:39]
	s_add_u32 s28, s28, 1
	s_addc_u32 s29, s29, 0
	v_cmp_ge_i64_e32 vcc, s[28:29], v[16:17]
	s_barrier
	s_cbranch_vccnz .LBB71_33
.LBB71_17:                              ; =>This Loop Header: Depth=1
                                        ;     Child Loop BB71_27 Depth 2
                                        ;     Child Loop BB71_31 Depth 2
	s_and_saveexec_b64 s[38:39], s[6:7]
	s_cbranch_execz .LBB71_22
; %bb.18:                               ;   in Loop: Header=BB71_17 Depth=1
	s_lshl_b64 s[40:41], s[28:29], 3
	s_add_u32 s40, s24, s40
	s_addc_u32 s41, s25, s41
	s_load_dwordx2 s[40:41], s[40:41], 0x0
	v_mov_b32_e32 v27, s30
	v_mov_b64_e32 v[20:21], s[20:21]
	s_waitcnt lgkmcnt(0)
	s_sub_u32 s42, s40, s17
	s_subb_u32 s43, s41, 0
	v_mad_u64_u32 v[18:19], s[40:41], s42, v27, v[6:7]
	s_mul_i32 s40, s42, s31
	s_mul_i32 s43, s43, s30
	s_add_i32 s43, s40, s43
	v_add_u32_e32 v19, s43, v19
	v_mul_lo_u32 v28, v19, s22
	v_mul_lo_u32 v29, v18, s23
	v_mad_u64_u32 v[18:19], s[40:41], v18, s22, v[20:21]
	v_mad_u64_u32 v[20:21], s[40:41], s42, v27, v[8:9]
	v_add3_u32 v19, v28, v19, v29
	v_add_u32_e32 v21, s43, v21
	s_and_saveexec_b64 s[40:41], s[8:9]
	s_cbranch_execz .LBB71_20
; %bb.19:                               ;   in Loop: Header=BB71_17 Depth=1
	v_lshl_add_u64 v[28:29], v[18:19], 0, v[4:5]
	v_lshl_add_u64 v[30:31], v[20:21], 0, v[10:11]
	v_cndmask_b32_e64 v29, v29, v31, s[12:13]
	v_cndmask_b32_e64 v28, v28, v30, s[12:13]
	global_load_sbyte v27, v[28:29], off
	s_waitcnt vmcnt(0)
	ds_write_b32 v25, v27
.LBB71_20:                              ;   in Loop: Header=BB71_17 Depth=1
	s_or_b64 exec, exec, s[40:41]
	s_and_b64 exec, exec, s[10:11]
	s_cbranch_execz .LBB71_22
; %bb.21:                               ;   in Loop: Header=BB71_17 Depth=1
	v_lshl_add_u64 v[20:21], v[20:21], 0, v[12:13]
	v_lshl_add_u64 v[18:19], v[18:19], 0, v[2:3]
	v_cndmask_b32_e64 v19, v19, v21, s[12:13]
	v_cndmask_b32_e64 v18, v18, v20, s[12:13]
	global_load_sbyte v18, v[18:19], off
	s_waitcnt vmcnt(0)
	ds_write_b32 v25, v18 offset:4096
.LBB71_22:                              ;   in Loop: Header=BB71_17 Depth=1
	s_or_b64 exec, exec, s[38:39]
	s_and_saveexec_b64 s[38:39], s[34:35]
	s_cbranch_execz .LBB71_24
; %bb.23:                               ;   in Loop: Header=BB71_17 Depth=1
	s_mul_i32 s40, s3, s28
	s_mul_i32 s41, s45, s29
	v_mov_b32_e32 v18, s28
	s_add_i32 s42, s41, s40
	v_mad_u64_u32 v[18:19], s[40:41], s45, v18, v[14:15]
	v_add_u32_e32 v19, s42, v19
	global_load_sbyte v18, v[18:19], off
	s_waitcnt vmcnt(0)
	ds_write_b32 v26, v18
.LBB71_24:                              ;   in Loop: Header=BB71_17 Depth=1
	s_or_b64 exec, exec, s[38:39]
	s_waitcnt lgkmcnt(0)
	s_barrier
	s_and_saveexec_b64 s[38:39], s[6:7]
	s_cbranch_execz .LBB71_16
; %bb.25:                               ;   in Loop: Header=BB71_17 Depth=1
	s_and_saveexec_b64 s[40:41], s[26:27]
	s_cbranch_execz .LBB71_29
; %bb.26:                               ;   in Loop: Header=BB71_17 Depth=1
	v_mov_b32_e32 v20, v23
	v_mov_b32_e32 v21, v22
	s_mov_b64 s[42:43], s[30:31]
.LBB71_27:                              ;   Parent Loop BB71_17 Depth=1
                                        ; =>  This Inner Loop Header: Depth=2
	ds_read_b32 v18, v20
	ds_read_b32 v19, v21
	s_add_u32 s42, s42, -1
	s_addc_u32 s43, s43, -1
	v_add_u32_e32 v21, 4, v21
	v_add_u32_e32 v20, 4, v20
	s_waitcnt lgkmcnt(0)
	v_mad_u64_u32 v[18:19], s[46:47], v19, v18, v[0:1]
	v_mov_b32_e32 v19, v1
	s_cmp_lg_u64 s[42:43], 0
	v_mov_b64_e32 v[0:1], v[18:19]
	s_cbranch_scc1 .LBB71_27
; %bb.28:                               ;   in Loop: Header=BB71_17 Depth=1
	v_mov_b64_e32 v[0:1], v[18:19]
.LBB71_29:                              ;   in Loop: Header=BB71_17 Depth=1
	s_or_b64 exec, exec, s[40:41]
	s_and_saveexec_b64 s[40:41], s[36:37]
	s_cbranch_execz .LBB71_15
; %bb.30:                               ;   in Loop: Header=BB71_17 Depth=1
	v_mov_b32_e32 v18, v23
	v_mov_b32_e32 v19, v24
	s_mov_b64 s[42:43], s[30:31]
.LBB71_31:                              ;   Parent Loop BB71_17 Depth=1
                                        ; =>  This Inner Loop Header: Depth=2
	ds_read_b32 v21, v18
	ds_read_b32 v27, v19
	v_mov_b32_e32 v20, v1
	s_add_u32 s42, s42, -1
	s_addc_u32 s43, s43, -1
	v_add_u32_e32 v19, 4, v19
	s_waitcnt lgkmcnt(0)
	v_mad_u64_u32 v[20:21], s[46:47], v27, v21, v[20:21]
	v_add_u32_e32 v18, 4, v18
	s_cmp_lg_u64 s[42:43], 0
	v_mov_b32_e32 v1, v20
	s_cbranch_scc1 .LBB71_31
	s_branch .LBB71_15
.LBB71_32:
	v_mov_b32_e32 v0, v5
	v_mov_b32_e32 v1, v5
.LBB71_33:
	s_and_b64 s[4:5], s[4:5], s[6:7]
	s_and_saveexec_b64 s[6:7], s[4:5]
	s_cbranch_execz .LBB71_53
; %bb.34:
	v_mov_b32_e32 v8, s2
	v_mad_u64_u32 v[6:7], s[4:5], s30, v8, v[6:7]
	s_mul_i32 s2, s31, s2
	v_add_u32_e32 v7, s2, v7
	s_load_dwordx2 s[2:3], s[0:1], 0x78
	s_cmp_lg_u32 s44, 0
	s_cselect_b64 s[0:1], -1, 0
	s_cmp_lg_u32 s16, 1
	s_cselect_b64 s[4:5], -1, 0
	s_waitcnt lgkmcnt(0)
	v_mul_lo_u32 v10, s3, v6
	v_mul_lo_u32 v11, s2, v7
	v_mad_u64_u32 v[8:9], s[6:7], s2, v6, 0
	v_add3_u32 v9, v9, v11, v10
	v_lshl_add_u64 v[8:9], v[8:9], 2, s[18:19]
	v_lshl_add_u64 v[6:7], v[6:7], 2, s[18:19]
	v_cmp_gt_i64_e32 vcc, s[14:15], v[4:5]
	s_and_saveexec_b64 s[6:7], vcc
	s_cbranch_execz .LBB71_46
; %bb.35:
	s_mov_b64 s[8:9], -1
	s_and_b64 vcc, exec, s[0:1]
	s_cbranch_vccz .LBB71_41
; %bb.36:
	s_and_b64 vcc, exec, s[4:5]
	s_cbranch_vccz .LBB71_38
; %bb.37:
	v_lshl_add_u64 v[10:11], v[4:5], 2, v[8:9]
	global_load_dword v13, v[10:11], off
	v_mul_lo_u32 v12, v0, s33
	s_waitcnt vmcnt(0)
	v_mad_u64_u32 v[12:13], s[8:9], v13, s44, v[12:13]
	global_store_dword v[10:11], v12, off
	s_mov_b64 s[8:9], 0
.LBB71_38:
	s_andn2_b64 vcc, exec, s[8:9]
	s_cbranch_vccnz .LBB71_40
; %bb.39:
	v_mad_u64_u32 v[10:11], s[8:9], s2, v4, 0
	v_mov_b32_e32 v12, v11
	v_mad_u64_u32 v[12:13], s[8:9], s3, v4, v[12:13]
	v_mov_b32_e32 v11, v12
	v_lshl_add_u64 v[10:11], v[10:11], 2, v[6:7]
	global_load_dword v13, v[10:11], off
	v_mul_lo_u32 v12, v0, s33
	s_waitcnt vmcnt(0)
	v_mad_u64_u32 v[12:13], s[8:9], v13, s44, v[12:13]
	global_store_dword v[10:11], v12, off
.LBB71_40:
	s_mov_b64 s[8:9], 0
.LBB71_41:
	s_andn2_b64 vcc, exec, s[8:9]
	s_cbranch_vccnz .LBB71_46
; %bb.42:
	v_mul_lo_u32 v0, v0, s33
	s_mov_b64 s[8:9], -1
	s_and_b64 vcc, exec, s[4:5]
	s_cbranch_vccz .LBB71_44
; %bb.43:
	v_lshl_add_u64 v[10:11], v[4:5], 2, v[8:9]
	global_store_dword v[10:11], v0, off
	s_mov_b64 s[8:9], 0
.LBB71_44:
	s_andn2_b64 vcc, exec, s[8:9]
	s_cbranch_vccnz .LBB71_46
; %bb.45:
	v_mad_u64_u32 v[10:11], s[8:9], s2, v4, 0
	v_mov_b32_e32 v12, v11
	v_mad_u64_u32 v[4:5], s[8:9], s3, v4, v[12:13]
	v_mov_b32_e32 v11, v4
	v_lshl_add_u64 v[4:5], v[10:11], 2, v[6:7]
	global_store_dword v[4:5], v0, off
.LBB71_46:
	s_or_b64 exec, exec, s[6:7]
	v_cmp_gt_i64_e32 vcc, s[14:15], v[2:3]
	s_and_b64 exec, exec, vcc
	s_cbranch_execz .LBB71_53
; %bb.47:
	v_cndmask_b32_e64 v0, 0, 1, s[4:5]
	s_andn2_b64 vcc, exec, s[0:1]
	v_cmp_ne_u32_e64 s[0:1], 1, v0
	s_cbranch_vccnz .LBB71_54
; %bb.48:
	s_and_b64 vcc, exec, s[0:1]
	s_mov_b64 s[4:5], -1
	s_cbranch_vccnz .LBB71_50
; %bb.49:
	v_lshl_add_u64 v[4:5], v[2:3], 2, v[8:9]
	global_load_dword v10, v[4:5], off
	v_mul_lo_u32 v0, v1, s33
	s_waitcnt vmcnt(0)
	v_mad_u64_u32 v[10:11], s[4:5], v10, s44, v[0:1]
	s_mov_b64 s[4:5], 0
	global_store_dword v[4:5], v10, off
.LBB71_50:
	s_andn2_b64 vcc, exec, s[4:5]
	s_cbranch_vccnz .LBB71_52
; %bb.51:
	v_mad_u64_u32 v[4:5], s[4:5], s2, v2, 0
	v_mov_b32_e32 v0, v5
	v_mad_u64_u32 v[10:11], s[4:5], s3, v2, v[0:1]
	v_mov_b32_e32 v5, v10
	v_lshl_add_u64 v[4:5], v[4:5], 2, v[6:7]
	global_load_dword v10, v[4:5], off
	v_mul_lo_u32 v0, v1, s33
	s_waitcnt vmcnt(0)
	v_mad_u64_u32 v[10:11], s[4:5], v10, s44, v[0:1]
	global_store_dword v[4:5], v10, off
.LBB71_52:
	s_cbranch_execz .LBB71_55
.LBB71_53:
	s_endpgm
.LBB71_54:
.LBB71_55:
	v_mul_lo_u32 v0, v1, s33
	s_and_b64 vcc, exec, s[0:1]
	s_mov_b64 s[0:1], -1
	s_cbranch_vccnz .LBB71_57
; %bb.56:
	v_lshl_add_u64 v[4:5], v[2:3], 2, v[8:9]
	s_mov_b64 s[0:1], 0
	global_store_dword v[4:5], v0, off
.LBB71_57:
	s_andn2_b64 vcc, exec, s[0:1]
	s_cbranch_vccnz .LBB71_53
; %bb.58:
	v_mad_u64_u32 v[4:5], s[0:1], s2, v2, 0
	v_mov_b32_e32 v8, v5
	v_mad_u64_u32 v[2:3], s[0:1], s3, v2, v[8:9]
	v_mov_b32_e32 v5, v2
	v_lshl_add_u64 v[2:3], v[4:5], 2, v[6:7]
	global_store_dword v[2:3], v0, off
	s_endpgm
	.section	.rodata,"a",@progbits
	.p2align	6, 0x0
	.amdhsa_kernel _ZN9rocsparseL31bsrmm_large_blockdim_kernel_extILj32ELj32ELj2EllaaiiEEvb20rocsparse_direction_T3_S2_llNS_24const_host_device_scalarIT7_EEPKT2_PKS2_PKT4_S2_PKT5_llS5_PT6_ll16rocsparse_order_21rocsparse_index_base_b
		.amdhsa_group_segment_fixed_size 12288
		.amdhsa_private_segment_fixed_size 0
		.amdhsa_kernarg_size 148
		.amdhsa_user_sgpr_count 2
		.amdhsa_user_sgpr_dispatch_ptr 0
		.amdhsa_user_sgpr_queue_ptr 0
		.amdhsa_user_sgpr_kernarg_segment_ptr 1
		.amdhsa_user_sgpr_dispatch_id 0
		.amdhsa_user_sgpr_kernarg_preload_length 0
		.amdhsa_user_sgpr_kernarg_preload_offset 0
		.amdhsa_user_sgpr_private_segment_size 0
		.amdhsa_uses_dynamic_stack 0
		.amdhsa_enable_private_segment 0
		.amdhsa_system_sgpr_workgroup_id_x 1
		.amdhsa_system_sgpr_workgroup_id_y 1
		.amdhsa_system_sgpr_workgroup_id_z 0
		.amdhsa_system_sgpr_workgroup_info 0
		.amdhsa_system_vgpr_workitem_id 1
		.amdhsa_next_free_vgpr 32
		.amdhsa_next_free_sgpr 48
		.amdhsa_accum_offset 32
		.amdhsa_reserve_vcc 1
		.amdhsa_float_round_mode_32 0
		.amdhsa_float_round_mode_16_64 0
		.amdhsa_float_denorm_mode_32 3
		.amdhsa_float_denorm_mode_16_64 3
		.amdhsa_dx10_clamp 1
		.amdhsa_ieee_mode 1
		.amdhsa_fp16_overflow 0
		.amdhsa_tg_split 0
		.amdhsa_exception_fp_ieee_invalid_op 0
		.amdhsa_exception_fp_denorm_src 0
		.amdhsa_exception_fp_ieee_div_zero 0
		.amdhsa_exception_fp_ieee_overflow 0
		.amdhsa_exception_fp_ieee_underflow 0
		.amdhsa_exception_fp_ieee_inexact 0
		.amdhsa_exception_int_div_zero 0
	.end_amdhsa_kernel
	.section	.text._ZN9rocsparseL31bsrmm_large_blockdim_kernel_extILj32ELj32ELj2EllaaiiEEvb20rocsparse_direction_T3_S2_llNS_24const_host_device_scalarIT7_EEPKT2_PKS2_PKT4_S2_PKT5_llS5_PT6_ll16rocsparse_order_21rocsparse_index_base_b,"axG",@progbits,_ZN9rocsparseL31bsrmm_large_blockdim_kernel_extILj32ELj32ELj2EllaaiiEEvb20rocsparse_direction_T3_S2_llNS_24const_host_device_scalarIT7_EEPKT2_PKS2_PKT4_S2_PKT5_llS5_PT6_ll16rocsparse_order_21rocsparse_index_base_b,comdat
.Lfunc_end71:
	.size	_ZN9rocsparseL31bsrmm_large_blockdim_kernel_extILj32ELj32ELj2EllaaiiEEvb20rocsparse_direction_T3_S2_llNS_24const_host_device_scalarIT7_EEPKT2_PKS2_PKT4_S2_PKT5_llS5_PT6_ll16rocsparse_order_21rocsparse_index_base_b, .Lfunc_end71-_ZN9rocsparseL31bsrmm_large_blockdim_kernel_extILj32ELj32ELj2EllaaiiEEvb20rocsparse_direction_T3_S2_llNS_24const_host_device_scalarIT7_EEPKT2_PKS2_PKT4_S2_PKT5_llS5_PT6_ll16rocsparse_order_21rocsparse_index_base_b
                                        ; -- End function
	.set _ZN9rocsparseL31bsrmm_large_blockdim_kernel_extILj32ELj32ELj2EllaaiiEEvb20rocsparse_direction_T3_S2_llNS_24const_host_device_scalarIT7_EEPKT2_PKS2_PKT4_S2_PKT5_llS5_PT6_ll16rocsparse_order_21rocsparse_index_base_b.num_vgpr, 32
	.set _ZN9rocsparseL31bsrmm_large_blockdim_kernel_extILj32ELj32ELj2EllaaiiEEvb20rocsparse_direction_T3_S2_llNS_24const_host_device_scalarIT7_EEPKT2_PKS2_PKT4_S2_PKT5_llS5_PT6_ll16rocsparse_order_21rocsparse_index_base_b.num_agpr, 0
	.set _ZN9rocsparseL31bsrmm_large_blockdim_kernel_extILj32ELj32ELj2EllaaiiEEvb20rocsparse_direction_T3_S2_llNS_24const_host_device_scalarIT7_EEPKT2_PKS2_PKT4_S2_PKT5_llS5_PT6_ll16rocsparse_order_21rocsparse_index_base_b.numbered_sgpr, 48
	.set _ZN9rocsparseL31bsrmm_large_blockdim_kernel_extILj32ELj32ELj2EllaaiiEEvb20rocsparse_direction_T3_S2_llNS_24const_host_device_scalarIT7_EEPKT2_PKS2_PKT4_S2_PKT5_llS5_PT6_ll16rocsparse_order_21rocsparse_index_base_b.num_named_barrier, 0
	.set _ZN9rocsparseL31bsrmm_large_blockdim_kernel_extILj32ELj32ELj2EllaaiiEEvb20rocsparse_direction_T3_S2_llNS_24const_host_device_scalarIT7_EEPKT2_PKS2_PKT4_S2_PKT5_llS5_PT6_ll16rocsparse_order_21rocsparse_index_base_b.private_seg_size, 0
	.set _ZN9rocsparseL31bsrmm_large_blockdim_kernel_extILj32ELj32ELj2EllaaiiEEvb20rocsparse_direction_T3_S2_llNS_24const_host_device_scalarIT7_EEPKT2_PKS2_PKT4_S2_PKT5_llS5_PT6_ll16rocsparse_order_21rocsparse_index_base_b.uses_vcc, 1
	.set _ZN9rocsparseL31bsrmm_large_blockdim_kernel_extILj32ELj32ELj2EllaaiiEEvb20rocsparse_direction_T3_S2_llNS_24const_host_device_scalarIT7_EEPKT2_PKS2_PKT4_S2_PKT5_llS5_PT6_ll16rocsparse_order_21rocsparse_index_base_b.uses_flat_scratch, 0
	.set _ZN9rocsparseL31bsrmm_large_blockdim_kernel_extILj32ELj32ELj2EllaaiiEEvb20rocsparse_direction_T3_S2_llNS_24const_host_device_scalarIT7_EEPKT2_PKS2_PKT4_S2_PKT5_llS5_PT6_ll16rocsparse_order_21rocsparse_index_base_b.has_dyn_sized_stack, 0
	.set _ZN9rocsparseL31bsrmm_large_blockdim_kernel_extILj32ELj32ELj2EllaaiiEEvb20rocsparse_direction_T3_S2_llNS_24const_host_device_scalarIT7_EEPKT2_PKS2_PKT4_S2_PKT5_llS5_PT6_ll16rocsparse_order_21rocsparse_index_base_b.has_recursion, 0
	.set _ZN9rocsparseL31bsrmm_large_blockdim_kernel_extILj32ELj32ELj2EllaaiiEEvb20rocsparse_direction_T3_S2_llNS_24const_host_device_scalarIT7_EEPKT2_PKS2_PKT4_S2_PKT5_llS5_PT6_ll16rocsparse_order_21rocsparse_index_base_b.has_indirect_call, 0
	.section	.AMDGPU.csdata,"",@progbits
; Kernel info:
; codeLenInByte = 1848
; TotalNumSgprs: 54
; NumVgprs: 32
; NumAgprs: 0
; TotalNumVgprs: 32
; ScratchSize: 0
; MemoryBound: 0
; FloatMode: 240
; IeeeMode: 1
; LDSByteSize: 12288 bytes/workgroup (compile time only)
; SGPRBlocks: 6
; VGPRBlocks: 3
; NumSGPRsForWavesPerEU: 54
; NumVGPRsForWavesPerEU: 32
; AccumOffset: 32
; Occupancy: 8
; WaveLimiterHint : 1
; COMPUTE_PGM_RSRC2:SCRATCH_EN: 0
; COMPUTE_PGM_RSRC2:USER_SGPR: 2
; COMPUTE_PGM_RSRC2:TRAP_HANDLER: 0
; COMPUTE_PGM_RSRC2:TGID_X_EN: 1
; COMPUTE_PGM_RSRC2:TGID_Y_EN: 1
; COMPUTE_PGM_RSRC2:TGID_Z_EN: 0
; COMPUTE_PGM_RSRC2:TIDIG_COMP_CNT: 1
; COMPUTE_PGM_RSRC3_GFX90A:ACCUM_OFFSET: 7
; COMPUTE_PGM_RSRC3_GFX90A:TG_SPLIT: 0
	.section	.text._ZN9rocsparseL31bsrmm_large_blockdim_kernel_extILj8ELj8ELj2EiiaaffEEvb20rocsparse_direction_T3_S2_llNS_24const_host_device_scalarIT7_EEPKT2_PKS2_PKT4_S2_PKT5_llS5_PT6_ll16rocsparse_order_21rocsparse_index_base_b,"axG",@progbits,_ZN9rocsparseL31bsrmm_large_blockdim_kernel_extILj8ELj8ELj2EiiaaffEEvb20rocsparse_direction_T3_S2_llNS_24const_host_device_scalarIT7_EEPKT2_PKS2_PKT4_S2_PKT5_llS5_PT6_ll16rocsparse_order_21rocsparse_index_base_b,comdat
	.globl	_ZN9rocsparseL31bsrmm_large_blockdim_kernel_extILj8ELj8ELj2EiiaaffEEvb20rocsparse_direction_T3_S2_llNS_24const_host_device_scalarIT7_EEPKT2_PKS2_PKT4_S2_PKT5_llS5_PT6_ll16rocsparse_order_21rocsparse_index_base_b ; -- Begin function _ZN9rocsparseL31bsrmm_large_blockdim_kernel_extILj8ELj8ELj2EiiaaffEEvb20rocsparse_direction_T3_S2_llNS_24const_host_device_scalarIT7_EEPKT2_PKS2_PKT4_S2_PKT5_llS5_PT6_ll16rocsparse_order_21rocsparse_index_base_b
	.p2align	8
	.type	_ZN9rocsparseL31bsrmm_large_blockdim_kernel_extILj8ELj8ELj2EiiaaffEEvb20rocsparse_direction_T3_S2_llNS_24const_host_device_scalarIT7_EEPKT2_PKS2_PKT4_S2_PKT5_llS5_PT6_ll16rocsparse_order_21rocsparse_index_base_b,@function
_ZN9rocsparseL31bsrmm_large_blockdim_kernel_extILj8ELj8ELj2EiiaaffEEvb20rocsparse_direction_T3_S2_llNS_24const_host_device_scalarIT7_EEPKT2_PKS2_PKT4_S2_PKT5_llS5_PT6_ll16rocsparse_order_21rocsparse_index_base_b: ; @_ZN9rocsparseL31bsrmm_large_blockdim_kernel_extILj8ELj8ELj2EiiaaffEEvb20rocsparse_direction_T3_S2_llNS_24const_host_device_scalarIT7_EEPKT2_PKS2_PKT4_S2_PKT5_llS5_PT6_ll16rocsparse_order_21rocsparse_index_base_b
; %bb.0:
	s_load_dwordx4 s[16:19], s[0:1], 0x80
	s_mov_b32 s4, s3
	s_waitcnt lgkmcnt(0)
	s_bitcmp1_b32 s18, 0
	s_load_dwordx2 s[18:19], s[0:1], 0x20
	s_load_dwordx2 s[28:29], s[0:1], 0x60
	s_cselect_b64 s[8:9], -1, 0
	s_xor_b64 s[6:7], s[8:9], -1
	s_and_b64 vcc, exec, s[8:9]
	s_cbranch_vccnz .LBB72_2
; %bb.1:
	s_waitcnt lgkmcnt(0)
	s_load_dword s18, s[18:19], 0x0
.LBB72_2:
	s_andn2_b64 vcc, exec, s[6:7]
	s_cbranch_vccnz .LBB72_4
; %bb.3:
	s_waitcnt lgkmcnt(0)
	s_load_dword s28, s[28:29], 0x0
.LBB72_4:
	s_waitcnt lgkmcnt(0)
	v_cmp_eq_f32_e64 s[6:7], s18, 0
	v_cmp_eq_f32_e64 s[8:9], s28, 1.0
	s_and_b64 s[6:7], s[6:7], s[8:9]
	s_mov_b32 s34, 0
	s_and_b64 vcc, exec, s[6:7]
	s_cbranch_vccnz .LBB72_48
; %bb.5:
	s_load_dwordx4 s[12:15], s[0:1], 0x0
	s_load_dwordx2 s[6:7], s[0:1], 0x28
	s_waitcnt lgkmcnt(0)
	s_cmp_lt_i32 s2, s14
	s_cselect_b64 s[30:31], -1, 0
	s_cmp_ge_i32 s2, s14
	s_cbranch_scc1 .LBB72_7
; %bb.6:
	s_ashr_i32 s3, s2, 31
	s_lshl_b64 s[8:9], s[2:3], 2
	s_add_u32 s8, s6, s8
	s_addc_u32 s9, s7, s9
	s_load_dword s3, s[8:9], 0x0
	s_waitcnt lgkmcnt(0)
	s_sub_i32 s34, s3, s17
.LBB72_7:
	s_andn2_b64 vcc, exec, s[30:31]
	s_mov_b32 s14, 0
	s_cbranch_vccnz .LBB72_9
; %bb.8:
	s_ashr_i32 s3, s2, 31
	s_lshl_b64 s[8:9], s[2:3], 2
	s_add_u32 s6, s6, s8
	s_addc_u32 s7, s7, s9
	s_load_dword s3, s[6:7], 0x4
	s_waitcnt lgkmcnt(0)
	s_sub_i32 s14, s3, s17
.LBB72_9:
	s_load_dwordx2 s[36:37], s[0:1], 0x68
	s_load_dword s3, s[0:1], 0x40
	v_bfe_u32 v8, v0, 10, 10
	v_lshl_add_u32 v4, s4, 4, v8
	v_add_u32_e32 v2, 8, v4
	v_and_b32_e32 v6, 0x3ff, v0
	s_waitcnt lgkmcnt(0)
	v_cmp_gt_i32_e32 vcc, s3, v6
	s_cmp_ge_i32 s34, s14
	v_cmp_gt_i32_e64 s[4:5], s15, v4
	v_cmp_gt_i32_e64 s[6:7], s15, v2
	s_cbranch_scc1 .LBB72_27
; %bb.10:
	s_load_dwordx4 s[20:23], s[0:1], 0x30
	s_load_dwordx4 s[24:27], s[0:1], 0x48
	v_cmp_gt_i32_e64 s[8:9], s3, v8
	s_and_b64 s[38:39], vcc, s[8:9]
	v_mov_b32_e32 v0, 0x200
	v_lshlrev_b32_e32 v7, 5, v8
	s_bitcmp1_b32 s12, 0
	v_lshl_add_u32 v14, v8, 2, v0
	v_mad_u64_u32 v[0:1], s[10:11], s3, v8, v[6:7]
	v_ashrrev_i32_e32 v5, 31, v4
	s_cselect_b64 s[8:9], -1, 0
	s_cmp_eq_u32 s13, 0
	v_mad_u64_u32 v[12:13], s[10:11], s3, v6, v[8:9]
	s_waitcnt lgkmcnt(0)
	v_mul_lo_u32 v1, s27, v4
	v_mul_lo_u32 v3, s26, v5
	v_mad_u64_u32 v[8:9], s[10:11], s26, v4, 0
	v_mad_u64_u32 v[10:11], s[10:11], s26, v2, 0
	v_add3_u32 v9, v9, v3, v1
	v_ashrrev_i32_e32 v3, 31, v2
	s_cselect_b64 s[10:11], -1, 0
	v_lshlrev_b32_e32 v15, 2, v6
	v_lshlrev_b32_e32 v20, 5, v6
	v_mul_lo_u32 v1, s27, v2
	v_mul_lo_u32 v13, s26, v3
	v_cndmask_b32_e64 v16, v0, v12, s[10:11]
	v_mov_b32_e32 v0, 0
	s_mul_i32 s19, s3, s3
	v_add3_u32 v11, v11, v13, v1
	v_add_u32_e32 v17, 0x200, v20
	v_add_u32_e32 v18, 0x100, v7
	v_mov_b32_e32 v1, v0
	v_add_u32_e32 v19, v15, v7
	v_add_u32_e32 v20, v14, v20
	s_branch .LBB72_13
.LBB72_11:                              ;   in Loop: Header=BB72_13 Depth=1
	s_or_b64 exec, exec, s[12:13]
.LBB72_12:                              ;   in Loop: Header=BB72_13 Depth=1
	s_or_b64 exec, exec, s[10:11]
	s_add_i32 s34, s34, 1
	s_cmp_ge_i32 s34, s14
	; wave barrier
	s_cbranch_scc1 .LBB72_28
.LBB72_13:                              ; =>This Loop Header: Depth=1
                                        ;     Child Loop BB72_23 Depth 2
                                        ;     Child Loop BB72_26 Depth 2
	s_and_saveexec_b64 s[10:11], vcc
	s_cbranch_execz .LBB72_18
; %bb.14:                               ;   in Loop: Header=BB72_13 Depth=1
	s_ashr_i32 s35, s34, 31
	s_lshl_b64 s[12:13], s[34:35], 2
	s_add_u32 s12, s20, s12
	s_addc_u32 s13, s21, s13
	s_load_dword s12, s[12:13], 0x0
	v_mov_b64_e32 v[12:13], s[24:25]
	s_waitcnt lgkmcnt(0)
	s_sub_i32 s12, s12, s17
	s_mul_i32 s12, s12, s3
	v_add_u32_e32 v14, s12, v6
	v_ashrrev_i32_e32 v15, 31, v14
	v_mul_lo_u32 v21, s27, v14
	v_mad_u64_u32 v[12:13], s[12:13], s26, v14, v[12:13]
	v_mul_lo_u32 v22, s26, v15
	v_add3_u32 v13, v21, v13, v22
	v_lshl_add_u64 v[14:15], s[24:25], 0, v[14:15]
	s_and_saveexec_b64 s[12:13], s[4:5]
	s_cbranch_execz .LBB72_16
; %bb.15:                               ;   in Loop: Header=BB72_13 Depth=1
	v_lshl_add_u64 v[22:23], v[12:13], 0, v[4:5]
	v_lshl_add_u64 v[24:25], v[14:15], 0, v[8:9]
	v_cndmask_b32_e64 v23, v23, v25, s[8:9]
	v_cndmask_b32_e64 v22, v22, v24, s[8:9]
	global_load_sbyte v21, v[22:23], off
	s_waitcnt vmcnt(0)
	v_cvt_f32_i32_e32 v21, v21
	ds_write_b32 v19, v21
.LBB72_16:                              ;   in Loop: Header=BB72_13 Depth=1
	s_or_b64 exec, exec, s[12:13]
	s_and_b64 exec, exec, s[6:7]
	s_cbranch_execz .LBB72_18
; %bb.17:                               ;   in Loop: Header=BB72_13 Depth=1
	v_lshl_add_u64 v[14:15], v[14:15], 0, v[10:11]
	v_lshl_add_u64 v[12:13], v[12:13], 0, v[2:3]
	v_cndmask_b32_e64 v13, v13, v15, s[8:9]
	v_cndmask_b32_e64 v12, v12, v14, s[8:9]
	global_load_sbyte v12, v[12:13], off
	s_waitcnt vmcnt(0)
	v_cvt_f32_i32_e32 v12, v12
	ds_write_b32 v19, v12 offset:256
.LBB72_18:                              ;   in Loop: Header=BB72_13 Depth=1
	s_or_b64 exec, exec, s[10:11]
	s_and_saveexec_b64 s[10:11], s[38:39]
	s_cbranch_execz .LBB72_20
; %bb.19:                               ;   in Loop: Header=BB72_13 Depth=1
	s_mul_i32 s12, s19, s34
	v_add_u32_e32 v12, s12, v16
	v_ashrrev_i32_e32 v13, 31, v12
	v_lshl_add_u64 v[12:13], s[22:23], 0, v[12:13]
	global_load_sbyte v12, v[12:13], off
	s_waitcnt vmcnt(0)
	v_cvt_f32_i32_e32 v12, v12
	ds_write_b32 v20, v12
.LBB72_20:                              ;   in Loop: Header=BB72_13 Depth=1
	s_or_b64 exec, exec, s[10:11]
	s_waitcnt lgkmcnt(0)
	; wave barrier
	s_and_saveexec_b64 s[10:11], vcc
	s_cbranch_execz .LBB72_12
; %bb.21:                               ;   in Loop: Header=BB72_13 Depth=1
	s_and_saveexec_b64 s[12:13], s[4:5]
	s_cbranch_execz .LBB72_24
; %bb.22:                               ;   in Loop: Header=BB72_13 Depth=1
	v_mov_b32_e32 v12, v17
	v_mov_b32_e32 v13, v7
	s_mov_b32 s29, s3
.LBB72_23:                              ;   Parent Loop BB72_13 Depth=1
                                        ; =>  This Inner Loop Header: Depth=2
	ds_read_b32 v14, v12
	ds_read_b32 v15, v13
	s_add_i32 s29, s29, -1
	v_add_u32_e32 v13, 4, v13
	v_add_u32_e32 v12, 4, v12
	s_cmp_lg_u32 s29, 0
	s_waitcnt lgkmcnt(0)
	v_fma_f32 v0, v14, v15, v0
	s_cbranch_scc1 .LBB72_23
.LBB72_24:                              ;   in Loop: Header=BB72_13 Depth=1
	s_or_b64 exec, exec, s[12:13]
	s_and_saveexec_b64 s[12:13], s[6:7]
	s_cbranch_execz .LBB72_11
; %bb.25:                               ;   in Loop: Header=BB72_13 Depth=1
	v_mov_b32_e32 v12, v17
	s_mov_b32 s29, s3
	v_mov_b32_e32 v13, v18
.LBB72_26:                              ;   Parent Loop BB72_13 Depth=1
                                        ; =>  This Inner Loop Header: Depth=2
	ds_read_b32 v14, v12
	ds_read_b32 v15, v13
	s_add_i32 s29, s29, -1
	v_add_u32_e32 v13, 4, v13
	v_add_u32_e32 v12, 4, v12
	s_cmp_lg_u32 s29, 0
	s_waitcnt lgkmcnt(0)
	v_fma_f32 v1, v14, v15, v1
	s_cbranch_scc1 .LBB72_26
	s_branch .LBB72_11
.LBB72_27:
	v_mov_b32_e32 v0, 0
	v_mov_b32_e32 v1, v0
.LBB72_28:
	s_and_b64 s[4:5], s[30:31], vcc
	s_and_saveexec_b64 s[6:7], s[4:5]
	s_cbranch_execz .LBB72_48
; %bb.29:
	s_mul_i32 s2, s3, s2
	v_add_u32_e32 v6, s2, v6
	s_load_dwordx2 s[2:3], s[0:1], 0x70
	v_ashrrev_i32_e32 v7, 31, v6
	s_cmp_lg_u32 s16, 1
	v_cmp_neq_f32_e64 s[0:1], s28, 0
	s_cselect_b64 s[4:5], -1, 0
	s_waitcnt lgkmcnt(0)
	v_mul_lo_u32 v3, s2, v7
	v_mul_lo_u32 v5, s3, v6
	v_mad_u64_u32 v[8:9], s[6:7], s2, v6, 0
	v_add3_u32 v9, v9, v3, v5
	v_lshl_add_u64 v[8:9], v[8:9], 2, s[36:37]
	v_lshl_add_u64 v[6:7], v[6:7], 2, s[36:37]
	v_cmp_gt_i32_e32 vcc, s15, v4
	s_and_saveexec_b64 s[6:7], vcc
	s_cbranch_execz .LBB72_41
; %bb.30:
	s_and_b64 vcc, exec, s[0:1]
	v_ashrrev_i32_e32 v5, 31, v4
	s_mov_b64 s[8:9], -1
	s_cbranch_vccz .LBB72_36
; %bb.31:
	s_and_b64 vcc, exec, s[4:5]
	s_cbranch_vccz .LBB72_33
; %bb.32:
	v_lshl_add_u64 v[10:11], v[4:5], 2, v[8:9]
	global_load_dword v3, v[10:11], off
	v_mul_f32_e32 v12, s18, v0
	s_mov_b64 s[8:9], 0
	s_waitcnt vmcnt(0)
	v_fmac_f32_e32 v12, s28, v3
	global_store_dword v[10:11], v12, off
.LBB72_33:
	s_andn2_b64 vcc, exec, s[8:9]
	s_cbranch_vccnz .LBB72_35
; %bb.34:
	v_mul_lo_u32 v3, s3, v4
	v_mul_lo_u32 v12, s2, v5
	v_mad_u64_u32 v[10:11], s[8:9], s2, v4, 0
	v_add3_u32 v11, v11, v12, v3
	v_lshl_add_u64 v[10:11], v[10:11], 2, v[6:7]
	global_load_dword v3, v[10:11], off
	v_mul_f32_e32 v12, s18, v0
	s_waitcnt vmcnt(0)
	v_fmac_f32_e32 v12, s28, v3
	global_store_dword v[10:11], v12, off
.LBB72_35:
	s_mov_b64 s[8:9], 0
.LBB72_36:
	s_andn2_b64 vcc, exec, s[8:9]
	s_cbranch_vccnz .LBB72_41
; %bb.37:
	v_mul_f32_e32 v0, s18, v0
	s_mov_b64 s[8:9], -1
	s_and_b64 vcc, exec, s[4:5]
	s_cbranch_vccz .LBB72_39
; %bb.38:
	v_lshl_add_u64 v[10:11], v[4:5], 2, v[8:9]
	global_store_dword v[10:11], v0, off
	s_mov_b64 s[8:9], 0
.LBB72_39:
	s_andn2_b64 vcc, exec, s[8:9]
	s_cbranch_vccnz .LBB72_41
; %bb.40:
	v_mul_lo_u32 v3, s3, v4
	v_mul_lo_u32 v10, s2, v5
	v_mad_u64_u32 v[4:5], s[8:9], s2, v4, 0
	v_add3_u32 v5, v5, v10, v3
	v_lshl_add_u64 v[4:5], v[4:5], 2, v[6:7]
	global_store_dword v[4:5], v0, off
.LBB72_41:
	s_or_b64 exec, exec, s[6:7]
	v_cmp_gt_i32_e32 vcc, s15, v2
	s_and_b64 exec, exec, vcc
	s_cbranch_execz .LBB72_48
; %bb.42:
	v_cndmask_b32_e64 v0, 0, 1, s[4:5]
	s_andn2_b64 vcc, exec, s[0:1]
	v_ashrrev_i32_e32 v3, 31, v2
	v_cmp_ne_u32_e64 s[0:1], 1, v0
	s_cbranch_vccnz .LBB72_49
; %bb.43:
	s_and_b64 vcc, exec, s[0:1]
	s_mov_b64 s[4:5], -1
	s_cbranch_vccnz .LBB72_45
; %bb.44:
	v_lshl_add_u64 v[4:5], v[2:3], 2, v[8:9]
	global_load_dword v0, v[4:5], off
	v_mul_f32_e32 v10, s18, v1
	s_mov_b64 s[4:5], 0
	s_waitcnt vmcnt(0)
	v_fmac_f32_e32 v10, s28, v0
	global_store_dword v[4:5], v10, off
.LBB72_45:
	s_andn2_b64 vcc, exec, s[4:5]
	s_cbranch_vccnz .LBB72_47
; %bb.46:
	v_mul_lo_u32 v0, s3, v2
	v_mul_lo_u32 v10, s2, v3
	v_mad_u64_u32 v[4:5], s[4:5], s2, v2, 0
	v_add3_u32 v5, v5, v10, v0
	v_lshl_add_u64 v[4:5], v[4:5], 2, v[6:7]
	global_load_dword v0, v[4:5], off
	v_mul_f32_e32 v10, s18, v1
	s_waitcnt vmcnt(0)
	v_fmac_f32_e32 v10, s28, v0
	global_store_dword v[4:5], v10, off
.LBB72_47:
	s_cbranch_execz .LBB72_50
.LBB72_48:
	s_endpgm
.LBB72_49:
.LBB72_50:
	v_mul_f32_e32 v0, s18, v1
	s_and_b64 vcc, exec, s[0:1]
	s_mov_b64 s[0:1], -1
	s_cbranch_vccnz .LBB72_52
; %bb.51:
	v_lshl_add_u64 v[4:5], v[2:3], 2, v[8:9]
	s_mov_b64 s[0:1], 0
	global_store_dword v[4:5], v0, off
.LBB72_52:
	s_andn2_b64 vcc, exec, s[0:1]
	s_cbranch_vccnz .LBB72_48
; %bb.53:
	v_mul_lo_u32 v1, s3, v2
	v_mul_lo_u32 v4, s2, v3
	v_mad_u64_u32 v[2:3], s[0:1], s2, v2, 0
	v_add3_u32 v3, v3, v4, v1
	v_lshl_add_u64 v[2:3], v[2:3], 2, v[6:7]
	global_store_dword v[2:3], v0, off
	s_endpgm
	.section	.rodata,"a",@progbits
	.p2align	6, 0x0
	.amdhsa_kernel _ZN9rocsparseL31bsrmm_large_blockdim_kernel_extILj8ELj8ELj2EiiaaffEEvb20rocsparse_direction_T3_S2_llNS_24const_host_device_scalarIT7_EEPKT2_PKS2_PKT4_S2_PKT5_llS5_PT6_ll16rocsparse_order_21rocsparse_index_base_b
		.amdhsa_group_segment_fixed_size 768
		.amdhsa_private_segment_fixed_size 0
		.amdhsa_kernarg_size 140
		.amdhsa_user_sgpr_count 2
		.amdhsa_user_sgpr_dispatch_ptr 0
		.amdhsa_user_sgpr_queue_ptr 0
		.amdhsa_user_sgpr_kernarg_segment_ptr 1
		.amdhsa_user_sgpr_dispatch_id 0
		.amdhsa_user_sgpr_kernarg_preload_length 0
		.amdhsa_user_sgpr_kernarg_preload_offset 0
		.amdhsa_user_sgpr_private_segment_size 0
		.amdhsa_uses_dynamic_stack 0
		.amdhsa_enable_private_segment 0
		.amdhsa_system_sgpr_workgroup_id_x 1
		.amdhsa_system_sgpr_workgroup_id_y 1
		.amdhsa_system_sgpr_workgroup_id_z 0
		.amdhsa_system_sgpr_workgroup_info 0
		.amdhsa_system_vgpr_workitem_id 1
		.amdhsa_next_free_vgpr 26
		.amdhsa_next_free_sgpr 40
		.amdhsa_accum_offset 28
		.amdhsa_reserve_vcc 1
		.amdhsa_float_round_mode_32 0
		.amdhsa_float_round_mode_16_64 0
		.amdhsa_float_denorm_mode_32 3
		.amdhsa_float_denorm_mode_16_64 3
		.amdhsa_dx10_clamp 1
		.amdhsa_ieee_mode 1
		.amdhsa_fp16_overflow 0
		.amdhsa_tg_split 0
		.amdhsa_exception_fp_ieee_invalid_op 0
		.amdhsa_exception_fp_denorm_src 0
		.amdhsa_exception_fp_ieee_div_zero 0
		.amdhsa_exception_fp_ieee_overflow 0
		.amdhsa_exception_fp_ieee_underflow 0
		.amdhsa_exception_fp_ieee_inexact 0
		.amdhsa_exception_int_div_zero 0
	.end_amdhsa_kernel
	.section	.text._ZN9rocsparseL31bsrmm_large_blockdim_kernel_extILj8ELj8ELj2EiiaaffEEvb20rocsparse_direction_T3_S2_llNS_24const_host_device_scalarIT7_EEPKT2_PKS2_PKT4_S2_PKT5_llS5_PT6_ll16rocsparse_order_21rocsparse_index_base_b,"axG",@progbits,_ZN9rocsparseL31bsrmm_large_blockdim_kernel_extILj8ELj8ELj2EiiaaffEEvb20rocsparse_direction_T3_S2_llNS_24const_host_device_scalarIT7_EEPKT2_PKS2_PKT4_S2_PKT5_llS5_PT6_ll16rocsparse_order_21rocsparse_index_base_b,comdat
.Lfunc_end72:
	.size	_ZN9rocsparseL31bsrmm_large_blockdim_kernel_extILj8ELj8ELj2EiiaaffEEvb20rocsparse_direction_T3_S2_llNS_24const_host_device_scalarIT7_EEPKT2_PKS2_PKT4_S2_PKT5_llS5_PT6_ll16rocsparse_order_21rocsparse_index_base_b, .Lfunc_end72-_ZN9rocsparseL31bsrmm_large_blockdim_kernel_extILj8ELj8ELj2EiiaaffEEvb20rocsparse_direction_T3_S2_llNS_24const_host_device_scalarIT7_EEPKT2_PKS2_PKT4_S2_PKT5_llS5_PT6_ll16rocsparse_order_21rocsparse_index_base_b
                                        ; -- End function
	.set _ZN9rocsparseL31bsrmm_large_blockdim_kernel_extILj8ELj8ELj2EiiaaffEEvb20rocsparse_direction_T3_S2_llNS_24const_host_device_scalarIT7_EEPKT2_PKS2_PKT4_S2_PKT5_llS5_PT6_ll16rocsparse_order_21rocsparse_index_base_b.num_vgpr, 26
	.set _ZN9rocsparseL31bsrmm_large_blockdim_kernel_extILj8ELj8ELj2EiiaaffEEvb20rocsparse_direction_T3_S2_llNS_24const_host_device_scalarIT7_EEPKT2_PKS2_PKT4_S2_PKT5_llS5_PT6_ll16rocsparse_order_21rocsparse_index_base_b.num_agpr, 0
	.set _ZN9rocsparseL31bsrmm_large_blockdim_kernel_extILj8ELj8ELj2EiiaaffEEvb20rocsparse_direction_T3_S2_llNS_24const_host_device_scalarIT7_EEPKT2_PKS2_PKT4_S2_PKT5_llS5_PT6_ll16rocsparse_order_21rocsparse_index_base_b.numbered_sgpr, 40
	.set _ZN9rocsparseL31bsrmm_large_blockdim_kernel_extILj8ELj8ELj2EiiaaffEEvb20rocsparse_direction_T3_S2_llNS_24const_host_device_scalarIT7_EEPKT2_PKS2_PKT4_S2_PKT5_llS5_PT6_ll16rocsparse_order_21rocsparse_index_base_b.num_named_barrier, 0
	.set _ZN9rocsparseL31bsrmm_large_blockdim_kernel_extILj8ELj8ELj2EiiaaffEEvb20rocsparse_direction_T3_S2_llNS_24const_host_device_scalarIT7_EEPKT2_PKS2_PKT4_S2_PKT5_llS5_PT6_ll16rocsparse_order_21rocsparse_index_base_b.private_seg_size, 0
	.set _ZN9rocsparseL31bsrmm_large_blockdim_kernel_extILj8ELj8ELj2EiiaaffEEvb20rocsparse_direction_T3_S2_llNS_24const_host_device_scalarIT7_EEPKT2_PKS2_PKT4_S2_PKT5_llS5_PT6_ll16rocsparse_order_21rocsparse_index_base_b.uses_vcc, 1
	.set _ZN9rocsparseL31bsrmm_large_blockdim_kernel_extILj8ELj8ELj2EiiaaffEEvb20rocsparse_direction_T3_S2_llNS_24const_host_device_scalarIT7_EEPKT2_PKS2_PKT4_S2_PKT5_llS5_PT6_ll16rocsparse_order_21rocsparse_index_base_b.uses_flat_scratch, 0
	.set _ZN9rocsparseL31bsrmm_large_blockdim_kernel_extILj8ELj8ELj2EiiaaffEEvb20rocsparse_direction_T3_S2_llNS_24const_host_device_scalarIT7_EEPKT2_PKS2_PKT4_S2_PKT5_llS5_PT6_ll16rocsparse_order_21rocsparse_index_base_b.has_dyn_sized_stack, 0
	.set _ZN9rocsparseL31bsrmm_large_blockdim_kernel_extILj8ELj8ELj2EiiaaffEEvb20rocsparse_direction_T3_S2_llNS_24const_host_device_scalarIT7_EEPKT2_PKS2_PKT4_S2_PKT5_llS5_PT6_ll16rocsparse_order_21rocsparse_index_base_b.has_recursion, 0
	.set _ZN9rocsparseL31bsrmm_large_blockdim_kernel_extILj8ELj8ELj2EiiaaffEEvb20rocsparse_direction_T3_S2_llNS_24const_host_device_scalarIT7_EEPKT2_PKS2_PKT4_S2_PKT5_llS5_PT6_ll16rocsparse_order_21rocsparse_index_base_b.has_indirect_call, 0
	.section	.AMDGPU.csdata,"",@progbits
; Kernel info:
; codeLenInByte = 1624
; TotalNumSgprs: 46
; NumVgprs: 26
; NumAgprs: 0
; TotalNumVgprs: 26
; ScratchSize: 0
; MemoryBound: 0
; FloatMode: 240
; IeeeMode: 1
; LDSByteSize: 768 bytes/workgroup (compile time only)
; SGPRBlocks: 5
; VGPRBlocks: 3
; NumSGPRsForWavesPerEU: 46
; NumVGPRsForWavesPerEU: 26
; AccumOffset: 28
; Occupancy: 8
; WaveLimiterHint : 1
; COMPUTE_PGM_RSRC2:SCRATCH_EN: 0
; COMPUTE_PGM_RSRC2:USER_SGPR: 2
; COMPUTE_PGM_RSRC2:TRAP_HANDLER: 0
; COMPUTE_PGM_RSRC2:TGID_X_EN: 1
; COMPUTE_PGM_RSRC2:TGID_Y_EN: 1
; COMPUTE_PGM_RSRC2:TGID_Z_EN: 0
; COMPUTE_PGM_RSRC2:TIDIG_COMP_CNT: 1
; COMPUTE_PGM_RSRC3_GFX90A:ACCUM_OFFSET: 6
; COMPUTE_PGM_RSRC3_GFX90A:TG_SPLIT: 0
	.section	.text._ZN9rocsparseL31bsrmm_large_blockdim_kernel_extILj4ELj16ELj2EiiaaffEEvb20rocsparse_direction_T3_S2_llNS_24const_host_device_scalarIT7_EEPKT2_PKS2_PKT4_S2_PKT5_llS5_PT6_ll16rocsparse_order_21rocsparse_index_base_b,"axG",@progbits,_ZN9rocsparseL31bsrmm_large_blockdim_kernel_extILj4ELj16ELj2EiiaaffEEvb20rocsparse_direction_T3_S2_llNS_24const_host_device_scalarIT7_EEPKT2_PKS2_PKT4_S2_PKT5_llS5_PT6_ll16rocsparse_order_21rocsparse_index_base_b,comdat
	.globl	_ZN9rocsparseL31bsrmm_large_blockdim_kernel_extILj4ELj16ELj2EiiaaffEEvb20rocsparse_direction_T3_S2_llNS_24const_host_device_scalarIT7_EEPKT2_PKS2_PKT4_S2_PKT5_llS5_PT6_ll16rocsparse_order_21rocsparse_index_base_b ; -- Begin function _ZN9rocsparseL31bsrmm_large_blockdim_kernel_extILj4ELj16ELj2EiiaaffEEvb20rocsparse_direction_T3_S2_llNS_24const_host_device_scalarIT7_EEPKT2_PKS2_PKT4_S2_PKT5_llS5_PT6_ll16rocsparse_order_21rocsparse_index_base_b
	.p2align	8
	.type	_ZN9rocsparseL31bsrmm_large_blockdim_kernel_extILj4ELj16ELj2EiiaaffEEvb20rocsparse_direction_T3_S2_llNS_24const_host_device_scalarIT7_EEPKT2_PKS2_PKT4_S2_PKT5_llS5_PT6_ll16rocsparse_order_21rocsparse_index_base_b,@function
_ZN9rocsparseL31bsrmm_large_blockdim_kernel_extILj4ELj16ELj2EiiaaffEEvb20rocsparse_direction_T3_S2_llNS_24const_host_device_scalarIT7_EEPKT2_PKS2_PKT4_S2_PKT5_llS5_PT6_ll16rocsparse_order_21rocsparse_index_base_b: ; @_ZN9rocsparseL31bsrmm_large_blockdim_kernel_extILj4ELj16ELj2EiiaaffEEvb20rocsparse_direction_T3_S2_llNS_24const_host_device_scalarIT7_EEPKT2_PKS2_PKT4_S2_PKT5_llS5_PT6_ll16rocsparse_order_21rocsparse_index_base_b
; %bb.0:
	s_load_dwordx4 s[16:19], s[0:1], 0x80
	s_mov_b32 s4, s3
	s_waitcnt lgkmcnt(0)
	s_bitcmp1_b32 s18, 0
	s_load_dwordx2 s[18:19], s[0:1], 0x20
	s_load_dwordx2 s[28:29], s[0:1], 0x60
	s_cselect_b64 s[8:9], -1, 0
	s_xor_b64 s[6:7], s[8:9], -1
	s_and_b64 vcc, exec, s[8:9]
	s_cbranch_vccnz .LBB73_2
; %bb.1:
	s_waitcnt lgkmcnt(0)
	s_load_dword s18, s[18:19], 0x0
.LBB73_2:
	s_andn2_b64 vcc, exec, s[6:7]
	s_cbranch_vccnz .LBB73_4
; %bb.3:
	s_waitcnt lgkmcnt(0)
	s_load_dword s28, s[28:29], 0x0
.LBB73_4:
	s_waitcnt lgkmcnt(0)
	v_cmp_eq_f32_e64 s[6:7], s18, 0
	v_cmp_eq_f32_e64 s[8:9], s28, 1.0
	s_and_b64 s[6:7], s[6:7], s[8:9]
	s_mov_b32 s34, 0
	s_and_b64 vcc, exec, s[6:7]
	s_cbranch_vccnz .LBB73_48
; %bb.5:
	s_load_dwordx4 s[12:15], s[0:1], 0x0
	s_load_dwordx2 s[6:7], s[0:1], 0x28
	s_waitcnt lgkmcnt(0)
	s_cmp_lt_i32 s2, s14
	s_cselect_b64 s[30:31], -1, 0
	s_cmp_ge_i32 s2, s14
	s_cbranch_scc1 .LBB73_7
; %bb.6:
	s_ashr_i32 s3, s2, 31
	s_lshl_b64 s[8:9], s[2:3], 2
	s_add_u32 s8, s6, s8
	s_addc_u32 s9, s7, s9
	s_load_dword s3, s[8:9], 0x0
	s_waitcnt lgkmcnt(0)
	s_sub_i32 s34, s3, s17
.LBB73_7:
	s_andn2_b64 vcc, exec, s[30:31]
	s_mov_b32 s14, 0
	s_cbranch_vccnz .LBB73_9
; %bb.8:
	s_ashr_i32 s3, s2, 31
	s_lshl_b64 s[8:9], s[2:3], 2
	s_add_u32 s6, s6, s8
	s_addc_u32 s7, s7, s9
	s_load_dword s3, s[6:7], 0x4
	s_waitcnt lgkmcnt(0)
	s_sub_i32 s14, s3, s17
.LBB73_9:
	s_load_dwordx2 s[36:37], s[0:1], 0x68
	s_load_dword s3, s[0:1], 0x40
	v_bfe_u32 v8, v0, 10, 10
	v_lshl_add_u32 v4, s4, 5, v8
	v_add_u32_e32 v2, 16, v4
	v_and_b32_e32 v6, 0x3ff, v0
	s_waitcnt lgkmcnt(0)
	v_cmp_gt_i32_e32 vcc, s3, v6
	s_cmp_ge_i32 s34, s14
	v_cmp_gt_i32_e64 s[4:5], s15, v4
	v_cmp_gt_i32_e64 s[6:7], s15, v2
	s_cbranch_scc1 .LBB73_27
; %bb.10:
	s_load_dwordx4 s[20:23], s[0:1], 0x30
	s_load_dwordx4 s[24:27], s[0:1], 0x48
	v_cmp_gt_i32_e64 s[8:9], s3, v8
	s_and_b64 s[38:39], vcc, s[8:9]
	v_mov_b32_e32 v0, 0x200
	v_lshlrev_b32_e32 v7, 4, v8
	s_bitcmp1_b32 s12, 0
	v_lshl_add_u32 v14, v8, 2, v0
	v_mad_u64_u32 v[0:1], s[10:11], s3, v8, v[6:7]
	v_ashrrev_i32_e32 v5, 31, v4
	s_cselect_b64 s[8:9], -1, 0
	s_cmp_eq_u32 s13, 0
	v_mad_u64_u32 v[12:13], s[10:11], s3, v6, v[8:9]
	s_waitcnt lgkmcnt(0)
	v_mul_lo_u32 v1, s27, v4
	v_mul_lo_u32 v3, s26, v5
	v_mad_u64_u32 v[8:9], s[10:11], s26, v4, 0
	v_mad_u64_u32 v[10:11], s[10:11], s26, v2, 0
	v_add3_u32 v9, v9, v3, v1
	v_ashrrev_i32_e32 v3, 31, v2
	s_cselect_b64 s[10:11], -1, 0
	v_lshlrev_b32_e32 v15, 2, v6
	v_lshlrev_b32_e32 v20, 4, v6
	v_mul_lo_u32 v1, s27, v2
	v_mul_lo_u32 v13, s26, v3
	v_cndmask_b32_e64 v16, v0, v12, s[10:11]
	v_mov_b32_e32 v0, 0
	s_mul_i32 s19, s3, s3
	v_add3_u32 v11, v11, v13, v1
	v_add_u32_e32 v17, 0x200, v20
	v_add_u32_e32 v18, 0x100, v7
	v_mov_b32_e32 v1, v0
	v_add_u32_e32 v19, v15, v7
	v_add_u32_e32 v20, v14, v20
	s_branch .LBB73_13
.LBB73_11:                              ;   in Loop: Header=BB73_13 Depth=1
	s_or_b64 exec, exec, s[12:13]
.LBB73_12:                              ;   in Loop: Header=BB73_13 Depth=1
	s_or_b64 exec, exec, s[10:11]
	s_add_i32 s34, s34, 1
	s_cmp_ge_i32 s34, s14
	; wave barrier
	s_cbranch_scc1 .LBB73_28
.LBB73_13:                              ; =>This Loop Header: Depth=1
                                        ;     Child Loop BB73_23 Depth 2
                                        ;     Child Loop BB73_26 Depth 2
	s_and_saveexec_b64 s[10:11], vcc
	s_cbranch_execz .LBB73_18
; %bb.14:                               ;   in Loop: Header=BB73_13 Depth=1
	s_ashr_i32 s35, s34, 31
	s_lshl_b64 s[12:13], s[34:35], 2
	s_add_u32 s12, s20, s12
	s_addc_u32 s13, s21, s13
	s_load_dword s12, s[12:13], 0x0
	v_mov_b64_e32 v[12:13], s[24:25]
	s_waitcnt lgkmcnt(0)
	s_sub_i32 s12, s12, s17
	s_mul_i32 s12, s12, s3
	v_add_u32_e32 v14, s12, v6
	v_ashrrev_i32_e32 v15, 31, v14
	v_mul_lo_u32 v21, s27, v14
	v_mad_u64_u32 v[12:13], s[12:13], s26, v14, v[12:13]
	v_mul_lo_u32 v22, s26, v15
	v_add3_u32 v13, v21, v13, v22
	v_lshl_add_u64 v[14:15], s[24:25], 0, v[14:15]
	s_and_saveexec_b64 s[12:13], s[4:5]
	s_cbranch_execz .LBB73_16
; %bb.15:                               ;   in Loop: Header=BB73_13 Depth=1
	v_lshl_add_u64 v[22:23], v[12:13], 0, v[4:5]
	v_lshl_add_u64 v[24:25], v[14:15], 0, v[8:9]
	v_cndmask_b32_e64 v23, v23, v25, s[8:9]
	v_cndmask_b32_e64 v22, v22, v24, s[8:9]
	global_load_sbyte v21, v[22:23], off
	s_waitcnt vmcnt(0)
	v_cvt_f32_i32_e32 v21, v21
	ds_write_b32 v19, v21
.LBB73_16:                              ;   in Loop: Header=BB73_13 Depth=1
	s_or_b64 exec, exec, s[12:13]
	s_and_b64 exec, exec, s[6:7]
	s_cbranch_execz .LBB73_18
; %bb.17:                               ;   in Loop: Header=BB73_13 Depth=1
	v_lshl_add_u64 v[14:15], v[14:15], 0, v[10:11]
	v_lshl_add_u64 v[12:13], v[12:13], 0, v[2:3]
	v_cndmask_b32_e64 v13, v13, v15, s[8:9]
	v_cndmask_b32_e64 v12, v12, v14, s[8:9]
	global_load_sbyte v12, v[12:13], off
	s_waitcnt vmcnt(0)
	v_cvt_f32_i32_e32 v12, v12
	ds_write_b32 v19, v12 offset:256
.LBB73_18:                              ;   in Loop: Header=BB73_13 Depth=1
	s_or_b64 exec, exec, s[10:11]
	s_and_saveexec_b64 s[10:11], s[38:39]
	s_cbranch_execz .LBB73_20
; %bb.19:                               ;   in Loop: Header=BB73_13 Depth=1
	s_mul_i32 s12, s19, s34
	v_add_u32_e32 v12, s12, v16
	v_ashrrev_i32_e32 v13, 31, v12
	v_lshl_add_u64 v[12:13], s[22:23], 0, v[12:13]
	global_load_sbyte v12, v[12:13], off
	s_waitcnt vmcnt(0)
	v_cvt_f32_i32_e32 v12, v12
	ds_write_b32 v20, v12
.LBB73_20:                              ;   in Loop: Header=BB73_13 Depth=1
	s_or_b64 exec, exec, s[10:11]
	s_waitcnt lgkmcnt(0)
	; wave barrier
	s_and_saveexec_b64 s[10:11], vcc
	s_cbranch_execz .LBB73_12
; %bb.21:                               ;   in Loop: Header=BB73_13 Depth=1
	s_and_saveexec_b64 s[12:13], s[4:5]
	s_cbranch_execz .LBB73_24
; %bb.22:                               ;   in Loop: Header=BB73_13 Depth=1
	v_mov_b32_e32 v12, v17
	v_mov_b32_e32 v13, v7
	s_mov_b32 s29, s3
.LBB73_23:                              ;   Parent Loop BB73_13 Depth=1
                                        ; =>  This Inner Loop Header: Depth=2
	ds_read_b32 v14, v12
	ds_read_b32 v15, v13
	s_add_i32 s29, s29, -1
	v_add_u32_e32 v13, 4, v13
	v_add_u32_e32 v12, 4, v12
	s_cmp_lg_u32 s29, 0
	s_waitcnt lgkmcnt(0)
	v_fma_f32 v0, v14, v15, v0
	s_cbranch_scc1 .LBB73_23
.LBB73_24:                              ;   in Loop: Header=BB73_13 Depth=1
	s_or_b64 exec, exec, s[12:13]
	s_and_saveexec_b64 s[12:13], s[6:7]
	s_cbranch_execz .LBB73_11
; %bb.25:                               ;   in Loop: Header=BB73_13 Depth=1
	v_mov_b32_e32 v12, v17
	s_mov_b32 s29, s3
	v_mov_b32_e32 v13, v18
.LBB73_26:                              ;   Parent Loop BB73_13 Depth=1
                                        ; =>  This Inner Loop Header: Depth=2
	ds_read_b32 v14, v12
	ds_read_b32 v15, v13
	s_add_i32 s29, s29, -1
	v_add_u32_e32 v13, 4, v13
	v_add_u32_e32 v12, 4, v12
	s_cmp_lg_u32 s29, 0
	s_waitcnt lgkmcnt(0)
	v_fma_f32 v1, v14, v15, v1
	s_cbranch_scc1 .LBB73_26
	s_branch .LBB73_11
.LBB73_27:
	v_mov_b32_e32 v0, 0
	v_mov_b32_e32 v1, v0
.LBB73_28:
	s_and_b64 s[4:5], s[30:31], vcc
	s_and_saveexec_b64 s[6:7], s[4:5]
	s_cbranch_execz .LBB73_48
; %bb.29:
	s_mul_i32 s2, s3, s2
	v_add_u32_e32 v6, s2, v6
	s_load_dwordx2 s[2:3], s[0:1], 0x70
	v_ashrrev_i32_e32 v7, 31, v6
	s_cmp_lg_u32 s16, 1
	v_cmp_neq_f32_e64 s[0:1], s28, 0
	s_cselect_b64 s[4:5], -1, 0
	s_waitcnt lgkmcnt(0)
	v_mul_lo_u32 v3, s2, v7
	v_mul_lo_u32 v5, s3, v6
	v_mad_u64_u32 v[8:9], s[6:7], s2, v6, 0
	v_add3_u32 v9, v9, v3, v5
	v_lshl_add_u64 v[8:9], v[8:9], 2, s[36:37]
	v_lshl_add_u64 v[6:7], v[6:7], 2, s[36:37]
	v_cmp_gt_i32_e32 vcc, s15, v4
	s_and_saveexec_b64 s[6:7], vcc
	s_cbranch_execz .LBB73_41
; %bb.30:
	s_and_b64 vcc, exec, s[0:1]
	v_ashrrev_i32_e32 v5, 31, v4
	s_mov_b64 s[8:9], -1
	s_cbranch_vccz .LBB73_36
; %bb.31:
	s_and_b64 vcc, exec, s[4:5]
	s_cbranch_vccz .LBB73_33
; %bb.32:
	v_lshl_add_u64 v[10:11], v[4:5], 2, v[8:9]
	global_load_dword v3, v[10:11], off
	v_mul_f32_e32 v12, s18, v0
	s_mov_b64 s[8:9], 0
	s_waitcnt vmcnt(0)
	v_fmac_f32_e32 v12, s28, v3
	global_store_dword v[10:11], v12, off
.LBB73_33:
	s_andn2_b64 vcc, exec, s[8:9]
	s_cbranch_vccnz .LBB73_35
; %bb.34:
	v_mul_lo_u32 v3, s3, v4
	v_mul_lo_u32 v12, s2, v5
	v_mad_u64_u32 v[10:11], s[8:9], s2, v4, 0
	v_add3_u32 v11, v11, v12, v3
	v_lshl_add_u64 v[10:11], v[10:11], 2, v[6:7]
	global_load_dword v3, v[10:11], off
	v_mul_f32_e32 v12, s18, v0
	s_waitcnt vmcnt(0)
	v_fmac_f32_e32 v12, s28, v3
	global_store_dword v[10:11], v12, off
.LBB73_35:
	s_mov_b64 s[8:9], 0
.LBB73_36:
	s_andn2_b64 vcc, exec, s[8:9]
	s_cbranch_vccnz .LBB73_41
; %bb.37:
	v_mul_f32_e32 v0, s18, v0
	s_mov_b64 s[8:9], -1
	s_and_b64 vcc, exec, s[4:5]
	s_cbranch_vccz .LBB73_39
; %bb.38:
	v_lshl_add_u64 v[10:11], v[4:5], 2, v[8:9]
	global_store_dword v[10:11], v0, off
	s_mov_b64 s[8:9], 0
.LBB73_39:
	s_andn2_b64 vcc, exec, s[8:9]
	s_cbranch_vccnz .LBB73_41
; %bb.40:
	v_mul_lo_u32 v3, s3, v4
	v_mul_lo_u32 v10, s2, v5
	v_mad_u64_u32 v[4:5], s[8:9], s2, v4, 0
	v_add3_u32 v5, v5, v10, v3
	v_lshl_add_u64 v[4:5], v[4:5], 2, v[6:7]
	global_store_dword v[4:5], v0, off
.LBB73_41:
	s_or_b64 exec, exec, s[6:7]
	v_cmp_gt_i32_e32 vcc, s15, v2
	s_and_b64 exec, exec, vcc
	s_cbranch_execz .LBB73_48
; %bb.42:
	v_cndmask_b32_e64 v0, 0, 1, s[4:5]
	s_andn2_b64 vcc, exec, s[0:1]
	v_ashrrev_i32_e32 v3, 31, v2
	v_cmp_ne_u32_e64 s[0:1], 1, v0
	s_cbranch_vccnz .LBB73_49
; %bb.43:
	s_and_b64 vcc, exec, s[0:1]
	s_mov_b64 s[4:5], -1
	s_cbranch_vccnz .LBB73_45
; %bb.44:
	v_lshl_add_u64 v[4:5], v[2:3], 2, v[8:9]
	global_load_dword v0, v[4:5], off
	v_mul_f32_e32 v10, s18, v1
	s_mov_b64 s[4:5], 0
	s_waitcnt vmcnt(0)
	v_fmac_f32_e32 v10, s28, v0
	global_store_dword v[4:5], v10, off
.LBB73_45:
	s_andn2_b64 vcc, exec, s[4:5]
	s_cbranch_vccnz .LBB73_47
; %bb.46:
	v_mul_lo_u32 v0, s3, v2
	v_mul_lo_u32 v10, s2, v3
	v_mad_u64_u32 v[4:5], s[4:5], s2, v2, 0
	v_add3_u32 v5, v5, v10, v0
	v_lshl_add_u64 v[4:5], v[4:5], 2, v[6:7]
	global_load_dword v0, v[4:5], off
	v_mul_f32_e32 v10, s18, v1
	s_waitcnt vmcnt(0)
	v_fmac_f32_e32 v10, s28, v0
	global_store_dword v[4:5], v10, off
.LBB73_47:
	s_cbranch_execz .LBB73_50
.LBB73_48:
	s_endpgm
.LBB73_49:
.LBB73_50:
	v_mul_f32_e32 v0, s18, v1
	s_and_b64 vcc, exec, s[0:1]
	s_mov_b64 s[0:1], -1
	s_cbranch_vccnz .LBB73_52
; %bb.51:
	v_lshl_add_u64 v[4:5], v[2:3], 2, v[8:9]
	s_mov_b64 s[0:1], 0
	global_store_dword v[4:5], v0, off
.LBB73_52:
	s_andn2_b64 vcc, exec, s[0:1]
	s_cbranch_vccnz .LBB73_48
; %bb.53:
	v_mul_lo_u32 v1, s3, v2
	v_mul_lo_u32 v4, s2, v3
	v_mad_u64_u32 v[2:3], s[0:1], s2, v2, 0
	v_add3_u32 v3, v3, v4, v1
	v_lshl_add_u64 v[2:3], v[2:3], 2, v[6:7]
	global_store_dword v[2:3], v0, off
	s_endpgm
	.section	.rodata,"a",@progbits
	.p2align	6, 0x0
	.amdhsa_kernel _ZN9rocsparseL31bsrmm_large_blockdim_kernel_extILj4ELj16ELj2EiiaaffEEvb20rocsparse_direction_T3_S2_llNS_24const_host_device_scalarIT7_EEPKT2_PKS2_PKT4_S2_PKT5_llS5_PT6_ll16rocsparse_order_21rocsparse_index_base_b
		.amdhsa_group_segment_fixed_size 576
		.amdhsa_private_segment_fixed_size 0
		.amdhsa_kernarg_size 140
		.amdhsa_user_sgpr_count 2
		.amdhsa_user_sgpr_dispatch_ptr 0
		.amdhsa_user_sgpr_queue_ptr 0
		.amdhsa_user_sgpr_kernarg_segment_ptr 1
		.amdhsa_user_sgpr_dispatch_id 0
		.amdhsa_user_sgpr_kernarg_preload_length 0
		.amdhsa_user_sgpr_kernarg_preload_offset 0
		.amdhsa_user_sgpr_private_segment_size 0
		.amdhsa_uses_dynamic_stack 0
		.amdhsa_enable_private_segment 0
		.amdhsa_system_sgpr_workgroup_id_x 1
		.amdhsa_system_sgpr_workgroup_id_y 1
		.amdhsa_system_sgpr_workgroup_id_z 0
		.amdhsa_system_sgpr_workgroup_info 0
		.amdhsa_system_vgpr_workitem_id 1
		.amdhsa_next_free_vgpr 26
		.amdhsa_next_free_sgpr 40
		.amdhsa_accum_offset 28
		.amdhsa_reserve_vcc 1
		.amdhsa_float_round_mode_32 0
		.amdhsa_float_round_mode_16_64 0
		.amdhsa_float_denorm_mode_32 3
		.amdhsa_float_denorm_mode_16_64 3
		.amdhsa_dx10_clamp 1
		.amdhsa_ieee_mode 1
		.amdhsa_fp16_overflow 0
		.amdhsa_tg_split 0
		.amdhsa_exception_fp_ieee_invalid_op 0
		.amdhsa_exception_fp_denorm_src 0
		.amdhsa_exception_fp_ieee_div_zero 0
		.amdhsa_exception_fp_ieee_overflow 0
		.amdhsa_exception_fp_ieee_underflow 0
		.amdhsa_exception_fp_ieee_inexact 0
		.amdhsa_exception_int_div_zero 0
	.end_amdhsa_kernel
	.section	.text._ZN9rocsparseL31bsrmm_large_blockdim_kernel_extILj4ELj16ELj2EiiaaffEEvb20rocsparse_direction_T3_S2_llNS_24const_host_device_scalarIT7_EEPKT2_PKS2_PKT4_S2_PKT5_llS5_PT6_ll16rocsparse_order_21rocsparse_index_base_b,"axG",@progbits,_ZN9rocsparseL31bsrmm_large_blockdim_kernel_extILj4ELj16ELj2EiiaaffEEvb20rocsparse_direction_T3_S2_llNS_24const_host_device_scalarIT7_EEPKT2_PKS2_PKT4_S2_PKT5_llS5_PT6_ll16rocsparse_order_21rocsparse_index_base_b,comdat
.Lfunc_end73:
	.size	_ZN9rocsparseL31bsrmm_large_blockdim_kernel_extILj4ELj16ELj2EiiaaffEEvb20rocsparse_direction_T3_S2_llNS_24const_host_device_scalarIT7_EEPKT2_PKS2_PKT4_S2_PKT5_llS5_PT6_ll16rocsparse_order_21rocsparse_index_base_b, .Lfunc_end73-_ZN9rocsparseL31bsrmm_large_blockdim_kernel_extILj4ELj16ELj2EiiaaffEEvb20rocsparse_direction_T3_S2_llNS_24const_host_device_scalarIT7_EEPKT2_PKS2_PKT4_S2_PKT5_llS5_PT6_ll16rocsparse_order_21rocsparse_index_base_b
                                        ; -- End function
	.set _ZN9rocsparseL31bsrmm_large_blockdim_kernel_extILj4ELj16ELj2EiiaaffEEvb20rocsparse_direction_T3_S2_llNS_24const_host_device_scalarIT7_EEPKT2_PKS2_PKT4_S2_PKT5_llS5_PT6_ll16rocsparse_order_21rocsparse_index_base_b.num_vgpr, 26
	.set _ZN9rocsparseL31bsrmm_large_blockdim_kernel_extILj4ELj16ELj2EiiaaffEEvb20rocsparse_direction_T3_S2_llNS_24const_host_device_scalarIT7_EEPKT2_PKS2_PKT4_S2_PKT5_llS5_PT6_ll16rocsparse_order_21rocsparse_index_base_b.num_agpr, 0
	.set _ZN9rocsparseL31bsrmm_large_blockdim_kernel_extILj4ELj16ELj2EiiaaffEEvb20rocsparse_direction_T3_S2_llNS_24const_host_device_scalarIT7_EEPKT2_PKS2_PKT4_S2_PKT5_llS5_PT6_ll16rocsparse_order_21rocsparse_index_base_b.numbered_sgpr, 40
	.set _ZN9rocsparseL31bsrmm_large_blockdim_kernel_extILj4ELj16ELj2EiiaaffEEvb20rocsparse_direction_T3_S2_llNS_24const_host_device_scalarIT7_EEPKT2_PKS2_PKT4_S2_PKT5_llS5_PT6_ll16rocsparse_order_21rocsparse_index_base_b.num_named_barrier, 0
	.set _ZN9rocsparseL31bsrmm_large_blockdim_kernel_extILj4ELj16ELj2EiiaaffEEvb20rocsparse_direction_T3_S2_llNS_24const_host_device_scalarIT7_EEPKT2_PKS2_PKT4_S2_PKT5_llS5_PT6_ll16rocsparse_order_21rocsparse_index_base_b.private_seg_size, 0
	.set _ZN9rocsparseL31bsrmm_large_blockdim_kernel_extILj4ELj16ELj2EiiaaffEEvb20rocsparse_direction_T3_S2_llNS_24const_host_device_scalarIT7_EEPKT2_PKS2_PKT4_S2_PKT5_llS5_PT6_ll16rocsparse_order_21rocsparse_index_base_b.uses_vcc, 1
	.set _ZN9rocsparseL31bsrmm_large_blockdim_kernel_extILj4ELj16ELj2EiiaaffEEvb20rocsparse_direction_T3_S2_llNS_24const_host_device_scalarIT7_EEPKT2_PKS2_PKT4_S2_PKT5_llS5_PT6_ll16rocsparse_order_21rocsparse_index_base_b.uses_flat_scratch, 0
	.set _ZN9rocsparseL31bsrmm_large_blockdim_kernel_extILj4ELj16ELj2EiiaaffEEvb20rocsparse_direction_T3_S2_llNS_24const_host_device_scalarIT7_EEPKT2_PKS2_PKT4_S2_PKT5_llS5_PT6_ll16rocsparse_order_21rocsparse_index_base_b.has_dyn_sized_stack, 0
	.set _ZN9rocsparseL31bsrmm_large_blockdim_kernel_extILj4ELj16ELj2EiiaaffEEvb20rocsparse_direction_T3_S2_llNS_24const_host_device_scalarIT7_EEPKT2_PKS2_PKT4_S2_PKT5_llS5_PT6_ll16rocsparse_order_21rocsparse_index_base_b.has_recursion, 0
	.set _ZN9rocsparseL31bsrmm_large_blockdim_kernel_extILj4ELj16ELj2EiiaaffEEvb20rocsparse_direction_T3_S2_llNS_24const_host_device_scalarIT7_EEPKT2_PKS2_PKT4_S2_PKT5_llS5_PT6_ll16rocsparse_order_21rocsparse_index_base_b.has_indirect_call, 0
	.section	.AMDGPU.csdata,"",@progbits
; Kernel info:
; codeLenInByte = 1624
; TotalNumSgprs: 46
; NumVgprs: 26
; NumAgprs: 0
; TotalNumVgprs: 26
; ScratchSize: 0
; MemoryBound: 0
; FloatMode: 240
; IeeeMode: 1
; LDSByteSize: 576 bytes/workgroup (compile time only)
; SGPRBlocks: 5
; VGPRBlocks: 3
; NumSGPRsForWavesPerEU: 46
; NumVGPRsForWavesPerEU: 26
; AccumOffset: 28
; Occupancy: 8
; WaveLimiterHint : 1
; COMPUTE_PGM_RSRC2:SCRATCH_EN: 0
; COMPUTE_PGM_RSRC2:USER_SGPR: 2
; COMPUTE_PGM_RSRC2:TRAP_HANDLER: 0
; COMPUTE_PGM_RSRC2:TGID_X_EN: 1
; COMPUTE_PGM_RSRC2:TGID_Y_EN: 1
; COMPUTE_PGM_RSRC2:TGID_Z_EN: 0
; COMPUTE_PGM_RSRC2:TIDIG_COMP_CNT: 1
; COMPUTE_PGM_RSRC3_GFX90A:ACCUM_OFFSET: 6
; COMPUTE_PGM_RSRC3_GFX90A:TG_SPLIT: 0
	.section	.text._ZN9rocsparseL31bsrmm_large_blockdim_kernel_extILj16ELj16ELj2EiiaaffEEvb20rocsparse_direction_T3_S2_llNS_24const_host_device_scalarIT7_EEPKT2_PKS2_PKT4_S2_PKT5_llS5_PT6_ll16rocsparse_order_21rocsparse_index_base_b,"axG",@progbits,_ZN9rocsparseL31bsrmm_large_blockdim_kernel_extILj16ELj16ELj2EiiaaffEEvb20rocsparse_direction_T3_S2_llNS_24const_host_device_scalarIT7_EEPKT2_PKS2_PKT4_S2_PKT5_llS5_PT6_ll16rocsparse_order_21rocsparse_index_base_b,comdat
	.globl	_ZN9rocsparseL31bsrmm_large_blockdim_kernel_extILj16ELj16ELj2EiiaaffEEvb20rocsparse_direction_T3_S2_llNS_24const_host_device_scalarIT7_EEPKT2_PKS2_PKT4_S2_PKT5_llS5_PT6_ll16rocsparse_order_21rocsparse_index_base_b ; -- Begin function _ZN9rocsparseL31bsrmm_large_blockdim_kernel_extILj16ELj16ELj2EiiaaffEEvb20rocsparse_direction_T3_S2_llNS_24const_host_device_scalarIT7_EEPKT2_PKS2_PKT4_S2_PKT5_llS5_PT6_ll16rocsparse_order_21rocsparse_index_base_b
	.p2align	8
	.type	_ZN9rocsparseL31bsrmm_large_blockdim_kernel_extILj16ELj16ELj2EiiaaffEEvb20rocsparse_direction_T3_S2_llNS_24const_host_device_scalarIT7_EEPKT2_PKS2_PKT4_S2_PKT5_llS5_PT6_ll16rocsparse_order_21rocsparse_index_base_b,@function
_ZN9rocsparseL31bsrmm_large_blockdim_kernel_extILj16ELj16ELj2EiiaaffEEvb20rocsparse_direction_T3_S2_llNS_24const_host_device_scalarIT7_EEPKT2_PKS2_PKT4_S2_PKT5_llS5_PT6_ll16rocsparse_order_21rocsparse_index_base_b: ; @_ZN9rocsparseL31bsrmm_large_blockdim_kernel_extILj16ELj16ELj2EiiaaffEEvb20rocsparse_direction_T3_S2_llNS_24const_host_device_scalarIT7_EEPKT2_PKS2_PKT4_S2_PKT5_llS5_PT6_ll16rocsparse_order_21rocsparse_index_base_b
; %bb.0:
	s_load_dwordx4 s[16:19], s[0:1], 0x80
	s_mov_b32 s4, s3
	s_waitcnt lgkmcnt(0)
	s_bitcmp1_b32 s18, 0
	s_load_dwordx2 s[18:19], s[0:1], 0x20
	s_load_dwordx2 s[28:29], s[0:1], 0x60
	s_cselect_b64 s[8:9], -1, 0
	s_xor_b64 s[6:7], s[8:9], -1
	s_and_b64 vcc, exec, s[8:9]
	s_cbranch_vccnz .LBB74_2
; %bb.1:
	s_waitcnt lgkmcnt(0)
	s_load_dword s18, s[18:19], 0x0
.LBB74_2:
	s_andn2_b64 vcc, exec, s[6:7]
	s_cbranch_vccnz .LBB74_4
; %bb.3:
	s_waitcnt lgkmcnt(0)
	s_load_dword s28, s[28:29], 0x0
.LBB74_4:
	s_waitcnt lgkmcnt(0)
	v_cmp_eq_f32_e64 s[6:7], s18, 0
	v_cmp_eq_f32_e64 s[8:9], s28, 1.0
	s_and_b64 s[6:7], s[6:7], s[8:9]
	s_mov_b32 s34, 0
	s_and_b64 vcc, exec, s[6:7]
	s_cbranch_vccnz .LBB74_48
; %bb.5:
	s_load_dwordx4 s[12:15], s[0:1], 0x0
	s_load_dwordx2 s[6:7], s[0:1], 0x28
	s_waitcnt lgkmcnt(0)
	s_cmp_lt_i32 s2, s14
	s_cselect_b64 s[30:31], -1, 0
	s_cmp_ge_i32 s2, s14
	s_cbranch_scc1 .LBB74_7
; %bb.6:
	s_ashr_i32 s3, s2, 31
	s_lshl_b64 s[8:9], s[2:3], 2
	s_add_u32 s8, s6, s8
	s_addc_u32 s9, s7, s9
	s_load_dword s3, s[8:9], 0x0
	s_waitcnt lgkmcnt(0)
	s_sub_i32 s34, s3, s17
.LBB74_7:
	s_andn2_b64 vcc, exec, s[30:31]
	s_mov_b32 s14, 0
	s_cbranch_vccnz .LBB74_9
; %bb.8:
	s_ashr_i32 s3, s2, 31
	s_lshl_b64 s[8:9], s[2:3], 2
	s_add_u32 s6, s6, s8
	s_addc_u32 s7, s7, s9
	s_load_dword s3, s[6:7], 0x4
	s_waitcnt lgkmcnt(0)
	s_sub_i32 s14, s3, s17
.LBB74_9:
	s_load_dwordx2 s[36:37], s[0:1], 0x68
	s_load_dword s3, s[0:1], 0x40
	v_bfe_u32 v8, v0, 10, 10
	v_lshl_add_u32 v4, s4, 5, v8
	v_add_u32_e32 v2, 16, v4
	v_and_b32_e32 v6, 0x3ff, v0
	s_waitcnt lgkmcnt(0)
	v_cmp_gt_i32_e32 vcc, s3, v6
	s_cmp_ge_i32 s34, s14
	v_cmp_gt_i32_e64 s[4:5], s15, v4
	v_cmp_gt_i32_e64 s[6:7], s15, v2
	s_cbranch_scc1 .LBB74_27
; %bb.10:
	s_load_dwordx4 s[20:23], s[0:1], 0x30
	s_load_dwordx4 s[24:27], s[0:1], 0x48
	v_cmp_gt_i32_e64 s[8:9], s3, v8
	s_and_b64 s[38:39], vcc, s[8:9]
	v_mov_b32_e32 v0, 0x800
	v_lshlrev_b32_e32 v7, 6, v8
	s_bitcmp1_b32 s12, 0
	v_lshl_add_u32 v14, v8, 2, v0
	v_mad_u64_u32 v[0:1], s[10:11], s3, v8, v[6:7]
	v_ashrrev_i32_e32 v5, 31, v4
	s_cselect_b64 s[8:9], -1, 0
	s_cmp_eq_u32 s13, 0
	v_mad_u64_u32 v[12:13], s[10:11], s3, v6, v[8:9]
	s_waitcnt lgkmcnt(0)
	v_mul_lo_u32 v1, s27, v4
	v_mul_lo_u32 v3, s26, v5
	v_mad_u64_u32 v[8:9], s[10:11], s26, v4, 0
	v_mad_u64_u32 v[10:11], s[10:11], s26, v2, 0
	v_add3_u32 v9, v9, v3, v1
	v_ashrrev_i32_e32 v3, 31, v2
	s_cselect_b64 s[10:11], -1, 0
	v_lshlrev_b32_e32 v15, 2, v6
	v_lshlrev_b32_e32 v20, 6, v6
	v_mul_lo_u32 v1, s27, v2
	v_mul_lo_u32 v13, s26, v3
	v_cndmask_b32_e64 v16, v0, v12, s[10:11]
	v_mov_b32_e32 v0, 0
	s_mul_i32 s19, s3, s3
	v_add3_u32 v11, v11, v13, v1
	v_add_u32_e32 v17, 0x800, v20
	v_add_u32_e32 v18, 0x400, v7
	v_mov_b32_e32 v1, v0
	v_add_u32_e32 v19, v15, v7
	v_add_u32_e32 v20, v14, v20
	s_branch .LBB74_13
.LBB74_11:                              ;   in Loop: Header=BB74_13 Depth=1
	s_or_b64 exec, exec, s[12:13]
.LBB74_12:                              ;   in Loop: Header=BB74_13 Depth=1
	s_or_b64 exec, exec, s[10:11]
	s_add_i32 s34, s34, 1
	s_cmp_ge_i32 s34, s14
	s_barrier
	s_cbranch_scc1 .LBB74_28
.LBB74_13:                              ; =>This Loop Header: Depth=1
                                        ;     Child Loop BB74_23 Depth 2
                                        ;     Child Loop BB74_26 Depth 2
	s_and_saveexec_b64 s[10:11], vcc
	s_cbranch_execz .LBB74_18
; %bb.14:                               ;   in Loop: Header=BB74_13 Depth=1
	s_ashr_i32 s35, s34, 31
	s_lshl_b64 s[12:13], s[34:35], 2
	s_add_u32 s12, s20, s12
	s_addc_u32 s13, s21, s13
	s_load_dword s12, s[12:13], 0x0
	v_mov_b64_e32 v[12:13], s[24:25]
	s_waitcnt lgkmcnt(0)
	s_sub_i32 s12, s12, s17
	s_mul_i32 s12, s12, s3
	v_add_u32_e32 v14, s12, v6
	v_ashrrev_i32_e32 v15, 31, v14
	v_mul_lo_u32 v21, s27, v14
	v_mad_u64_u32 v[12:13], s[12:13], s26, v14, v[12:13]
	v_mul_lo_u32 v22, s26, v15
	v_add3_u32 v13, v21, v13, v22
	v_lshl_add_u64 v[14:15], s[24:25], 0, v[14:15]
	s_and_saveexec_b64 s[12:13], s[4:5]
	s_cbranch_execz .LBB74_16
; %bb.15:                               ;   in Loop: Header=BB74_13 Depth=1
	v_lshl_add_u64 v[22:23], v[12:13], 0, v[4:5]
	v_lshl_add_u64 v[24:25], v[14:15], 0, v[8:9]
	v_cndmask_b32_e64 v23, v23, v25, s[8:9]
	v_cndmask_b32_e64 v22, v22, v24, s[8:9]
	global_load_sbyte v21, v[22:23], off
	s_waitcnt vmcnt(0)
	v_cvt_f32_i32_e32 v21, v21
	ds_write_b32 v19, v21
.LBB74_16:                              ;   in Loop: Header=BB74_13 Depth=1
	s_or_b64 exec, exec, s[12:13]
	s_and_b64 exec, exec, s[6:7]
	s_cbranch_execz .LBB74_18
; %bb.17:                               ;   in Loop: Header=BB74_13 Depth=1
	v_lshl_add_u64 v[14:15], v[14:15], 0, v[10:11]
	v_lshl_add_u64 v[12:13], v[12:13], 0, v[2:3]
	v_cndmask_b32_e64 v13, v13, v15, s[8:9]
	v_cndmask_b32_e64 v12, v12, v14, s[8:9]
	global_load_sbyte v12, v[12:13], off
	s_waitcnt vmcnt(0)
	v_cvt_f32_i32_e32 v12, v12
	ds_write_b32 v19, v12 offset:1024
.LBB74_18:                              ;   in Loop: Header=BB74_13 Depth=1
	s_or_b64 exec, exec, s[10:11]
	s_and_saveexec_b64 s[10:11], s[38:39]
	s_cbranch_execz .LBB74_20
; %bb.19:                               ;   in Loop: Header=BB74_13 Depth=1
	s_mul_i32 s12, s19, s34
	v_add_u32_e32 v12, s12, v16
	v_ashrrev_i32_e32 v13, 31, v12
	v_lshl_add_u64 v[12:13], s[22:23], 0, v[12:13]
	global_load_sbyte v12, v[12:13], off
	s_waitcnt vmcnt(0)
	v_cvt_f32_i32_e32 v12, v12
	ds_write_b32 v20, v12
.LBB74_20:                              ;   in Loop: Header=BB74_13 Depth=1
	s_or_b64 exec, exec, s[10:11]
	s_waitcnt lgkmcnt(0)
	s_barrier
	s_and_saveexec_b64 s[10:11], vcc
	s_cbranch_execz .LBB74_12
; %bb.21:                               ;   in Loop: Header=BB74_13 Depth=1
	s_and_saveexec_b64 s[12:13], s[4:5]
	s_cbranch_execz .LBB74_24
; %bb.22:                               ;   in Loop: Header=BB74_13 Depth=1
	v_mov_b32_e32 v12, v17
	v_mov_b32_e32 v13, v7
	s_mov_b32 s29, s3
.LBB74_23:                              ;   Parent Loop BB74_13 Depth=1
                                        ; =>  This Inner Loop Header: Depth=2
	ds_read_b32 v14, v12
	ds_read_b32 v15, v13
	s_add_i32 s29, s29, -1
	v_add_u32_e32 v13, 4, v13
	v_add_u32_e32 v12, 4, v12
	s_cmp_lg_u32 s29, 0
	s_waitcnt lgkmcnt(0)
	v_fma_f32 v0, v14, v15, v0
	s_cbranch_scc1 .LBB74_23
.LBB74_24:                              ;   in Loop: Header=BB74_13 Depth=1
	s_or_b64 exec, exec, s[12:13]
	s_and_saveexec_b64 s[12:13], s[6:7]
	s_cbranch_execz .LBB74_11
; %bb.25:                               ;   in Loop: Header=BB74_13 Depth=1
	v_mov_b32_e32 v12, v17
	s_mov_b32 s29, s3
	v_mov_b32_e32 v13, v18
.LBB74_26:                              ;   Parent Loop BB74_13 Depth=1
                                        ; =>  This Inner Loop Header: Depth=2
	ds_read_b32 v14, v12
	ds_read_b32 v15, v13
	s_add_i32 s29, s29, -1
	v_add_u32_e32 v13, 4, v13
	v_add_u32_e32 v12, 4, v12
	s_cmp_lg_u32 s29, 0
	s_waitcnt lgkmcnt(0)
	v_fma_f32 v1, v14, v15, v1
	s_cbranch_scc1 .LBB74_26
	s_branch .LBB74_11
.LBB74_27:
	v_mov_b32_e32 v0, 0
	v_mov_b32_e32 v1, v0
.LBB74_28:
	s_and_b64 s[4:5], s[30:31], vcc
	s_and_saveexec_b64 s[6:7], s[4:5]
	s_cbranch_execz .LBB74_48
; %bb.29:
	s_mul_i32 s2, s3, s2
	v_add_u32_e32 v6, s2, v6
	s_load_dwordx2 s[2:3], s[0:1], 0x70
	v_ashrrev_i32_e32 v7, 31, v6
	s_cmp_lg_u32 s16, 1
	v_cmp_neq_f32_e64 s[0:1], s28, 0
	s_cselect_b64 s[4:5], -1, 0
	s_waitcnt lgkmcnt(0)
	v_mul_lo_u32 v3, s2, v7
	v_mul_lo_u32 v5, s3, v6
	v_mad_u64_u32 v[8:9], s[6:7], s2, v6, 0
	v_add3_u32 v9, v9, v3, v5
	v_lshl_add_u64 v[8:9], v[8:9], 2, s[36:37]
	v_lshl_add_u64 v[6:7], v[6:7], 2, s[36:37]
	v_cmp_gt_i32_e32 vcc, s15, v4
	s_and_saveexec_b64 s[6:7], vcc
	s_cbranch_execz .LBB74_41
; %bb.30:
	s_and_b64 vcc, exec, s[0:1]
	v_ashrrev_i32_e32 v5, 31, v4
	s_mov_b64 s[8:9], -1
	s_cbranch_vccz .LBB74_36
; %bb.31:
	s_and_b64 vcc, exec, s[4:5]
	s_cbranch_vccz .LBB74_33
; %bb.32:
	v_lshl_add_u64 v[10:11], v[4:5], 2, v[8:9]
	global_load_dword v3, v[10:11], off
	v_mul_f32_e32 v12, s18, v0
	s_mov_b64 s[8:9], 0
	s_waitcnt vmcnt(0)
	v_fmac_f32_e32 v12, s28, v3
	global_store_dword v[10:11], v12, off
.LBB74_33:
	s_andn2_b64 vcc, exec, s[8:9]
	s_cbranch_vccnz .LBB74_35
; %bb.34:
	v_mul_lo_u32 v3, s3, v4
	v_mul_lo_u32 v12, s2, v5
	v_mad_u64_u32 v[10:11], s[8:9], s2, v4, 0
	v_add3_u32 v11, v11, v12, v3
	v_lshl_add_u64 v[10:11], v[10:11], 2, v[6:7]
	global_load_dword v3, v[10:11], off
	v_mul_f32_e32 v12, s18, v0
	s_waitcnt vmcnt(0)
	v_fmac_f32_e32 v12, s28, v3
	global_store_dword v[10:11], v12, off
.LBB74_35:
	s_mov_b64 s[8:9], 0
.LBB74_36:
	s_andn2_b64 vcc, exec, s[8:9]
	s_cbranch_vccnz .LBB74_41
; %bb.37:
	v_mul_f32_e32 v0, s18, v0
	s_mov_b64 s[8:9], -1
	s_and_b64 vcc, exec, s[4:5]
	s_cbranch_vccz .LBB74_39
; %bb.38:
	v_lshl_add_u64 v[10:11], v[4:5], 2, v[8:9]
	global_store_dword v[10:11], v0, off
	s_mov_b64 s[8:9], 0
.LBB74_39:
	s_andn2_b64 vcc, exec, s[8:9]
	s_cbranch_vccnz .LBB74_41
; %bb.40:
	v_mul_lo_u32 v3, s3, v4
	v_mul_lo_u32 v10, s2, v5
	v_mad_u64_u32 v[4:5], s[8:9], s2, v4, 0
	v_add3_u32 v5, v5, v10, v3
	v_lshl_add_u64 v[4:5], v[4:5], 2, v[6:7]
	global_store_dword v[4:5], v0, off
.LBB74_41:
	s_or_b64 exec, exec, s[6:7]
	v_cmp_gt_i32_e32 vcc, s15, v2
	s_and_b64 exec, exec, vcc
	s_cbranch_execz .LBB74_48
; %bb.42:
	v_cndmask_b32_e64 v0, 0, 1, s[4:5]
	s_andn2_b64 vcc, exec, s[0:1]
	v_ashrrev_i32_e32 v3, 31, v2
	v_cmp_ne_u32_e64 s[0:1], 1, v0
	s_cbranch_vccnz .LBB74_49
; %bb.43:
	s_and_b64 vcc, exec, s[0:1]
	s_mov_b64 s[4:5], -1
	s_cbranch_vccnz .LBB74_45
; %bb.44:
	v_lshl_add_u64 v[4:5], v[2:3], 2, v[8:9]
	global_load_dword v0, v[4:5], off
	v_mul_f32_e32 v10, s18, v1
	s_mov_b64 s[4:5], 0
	s_waitcnt vmcnt(0)
	v_fmac_f32_e32 v10, s28, v0
	global_store_dword v[4:5], v10, off
.LBB74_45:
	s_andn2_b64 vcc, exec, s[4:5]
	s_cbranch_vccnz .LBB74_47
; %bb.46:
	v_mul_lo_u32 v0, s3, v2
	v_mul_lo_u32 v10, s2, v3
	v_mad_u64_u32 v[4:5], s[4:5], s2, v2, 0
	v_add3_u32 v5, v5, v10, v0
	v_lshl_add_u64 v[4:5], v[4:5], 2, v[6:7]
	global_load_dword v0, v[4:5], off
	v_mul_f32_e32 v10, s18, v1
	s_waitcnt vmcnt(0)
	v_fmac_f32_e32 v10, s28, v0
	global_store_dword v[4:5], v10, off
.LBB74_47:
	s_cbranch_execz .LBB74_50
.LBB74_48:
	s_endpgm
.LBB74_49:
.LBB74_50:
	v_mul_f32_e32 v0, s18, v1
	s_and_b64 vcc, exec, s[0:1]
	s_mov_b64 s[0:1], -1
	s_cbranch_vccnz .LBB74_52
; %bb.51:
	v_lshl_add_u64 v[4:5], v[2:3], 2, v[8:9]
	s_mov_b64 s[0:1], 0
	global_store_dword v[4:5], v0, off
.LBB74_52:
	s_andn2_b64 vcc, exec, s[0:1]
	s_cbranch_vccnz .LBB74_48
; %bb.53:
	v_mul_lo_u32 v1, s3, v2
	v_mul_lo_u32 v4, s2, v3
	v_mad_u64_u32 v[2:3], s[0:1], s2, v2, 0
	v_add3_u32 v3, v3, v4, v1
	v_lshl_add_u64 v[2:3], v[2:3], 2, v[6:7]
	global_store_dword v[2:3], v0, off
	s_endpgm
	.section	.rodata,"a",@progbits
	.p2align	6, 0x0
	.amdhsa_kernel _ZN9rocsparseL31bsrmm_large_blockdim_kernel_extILj16ELj16ELj2EiiaaffEEvb20rocsparse_direction_T3_S2_llNS_24const_host_device_scalarIT7_EEPKT2_PKS2_PKT4_S2_PKT5_llS5_PT6_ll16rocsparse_order_21rocsparse_index_base_b
		.amdhsa_group_segment_fixed_size 3072
		.amdhsa_private_segment_fixed_size 0
		.amdhsa_kernarg_size 140
		.amdhsa_user_sgpr_count 2
		.amdhsa_user_sgpr_dispatch_ptr 0
		.amdhsa_user_sgpr_queue_ptr 0
		.amdhsa_user_sgpr_kernarg_segment_ptr 1
		.amdhsa_user_sgpr_dispatch_id 0
		.amdhsa_user_sgpr_kernarg_preload_length 0
		.amdhsa_user_sgpr_kernarg_preload_offset 0
		.amdhsa_user_sgpr_private_segment_size 0
		.amdhsa_uses_dynamic_stack 0
		.amdhsa_enable_private_segment 0
		.amdhsa_system_sgpr_workgroup_id_x 1
		.amdhsa_system_sgpr_workgroup_id_y 1
		.amdhsa_system_sgpr_workgroup_id_z 0
		.amdhsa_system_sgpr_workgroup_info 0
		.amdhsa_system_vgpr_workitem_id 1
		.amdhsa_next_free_vgpr 26
		.amdhsa_next_free_sgpr 40
		.amdhsa_accum_offset 28
		.amdhsa_reserve_vcc 1
		.amdhsa_float_round_mode_32 0
		.amdhsa_float_round_mode_16_64 0
		.amdhsa_float_denorm_mode_32 3
		.amdhsa_float_denorm_mode_16_64 3
		.amdhsa_dx10_clamp 1
		.amdhsa_ieee_mode 1
		.amdhsa_fp16_overflow 0
		.amdhsa_tg_split 0
		.amdhsa_exception_fp_ieee_invalid_op 0
		.amdhsa_exception_fp_denorm_src 0
		.amdhsa_exception_fp_ieee_div_zero 0
		.amdhsa_exception_fp_ieee_overflow 0
		.amdhsa_exception_fp_ieee_underflow 0
		.amdhsa_exception_fp_ieee_inexact 0
		.amdhsa_exception_int_div_zero 0
	.end_amdhsa_kernel
	.section	.text._ZN9rocsparseL31bsrmm_large_blockdim_kernel_extILj16ELj16ELj2EiiaaffEEvb20rocsparse_direction_T3_S2_llNS_24const_host_device_scalarIT7_EEPKT2_PKS2_PKT4_S2_PKT5_llS5_PT6_ll16rocsparse_order_21rocsparse_index_base_b,"axG",@progbits,_ZN9rocsparseL31bsrmm_large_blockdim_kernel_extILj16ELj16ELj2EiiaaffEEvb20rocsparse_direction_T3_S2_llNS_24const_host_device_scalarIT7_EEPKT2_PKS2_PKT4_S2_PKT5_llS5_PT6_ll16rocsparse_order_21rocsparse_index_base_b,comdat
.Lfunc_end74:
	.size	_ZN9rocsparseL31bsrmm_large_blockdim_kernel_extILj16ELj16ELj2EiiaaffEEvb20rocsparse_direction_T3_S2_llNS_24const_host_device_scalarIT7_EEPKT2_PKS2_PKT4_S2_PKT5_llS5_PT6_ll16rocsparse_order_21rocsparse_index_base_b, .Lfunc_end74-_ZN9rocsparseL31bsrmm_large_blockdim_kernel_extILj16ELj16ELj2EiiaaffEEvb20rocsparse_direction_T3_S2_llNS_24const_host_device_scalarIT7_EEPKT2_PKS2_PKT4_S2_PKT5_llS5_PT6_ll16rocsparse_order_21rocsparse_index_base_b
                                        ; -- End function
	.set _ZN9rocsparseL31bsrmm_large_blockdim_kernel_extILj16ELj16ELj2EiiaaffEEvb20rocsparse_direction_T3_S2_llNS_24const_host_device_scalarIT7_EEPKT2_PKS2_PKT4_S2_PKT5_llS5_PT6_ll16rocsparse_order_21rocsparse_index_base_b.num_vgpr, 26
	.set _ZN9rocsparseL31bsrmm_large_blockdim_kernel_extILj16ELj16ELj2EiiaaffEEvb20rocsparse_direction_T3_S2_llNS_24const_host_device_scalarIT7_EEPKT2_PKS2_PKT4_S2_PKT5_llS5_PT6_ll16rocsparse_order_21rocsparse_index_base_b.num_agpr, 0
	.set _ZN9rocsparseL31bsrmm_large_blockdim_kernel_extILj16ELj16ELj2EiiaaffEEvb20rocsparse_direction_T3_S2_llNS_24const_host_device_scalarIT7_EEPKT2_PKS2_PKT4_S2_PKT5_llS5_PT6_ll16rocsparse_order_21rocsparse_index_base_b.numbered_sgpr, 40
	.set _ZN9rocsparseL31bsrmm_large_blockdim_kernel_extILj16ELj16ELj2EiiaaffEEvb20rocsparse_direction_T3_S2_llNS_24const_host_device_scalarIT7_EEPKT2_PKS2_PKT4_S2_PKT5_llS5_PT6_ll16rocsparse_order_21rocsparse_index_base_b.num_named_barrier, 0
	.set _ZN9rocsparseL31bsrmm_large_blockdim_kernel_extILj16ELj16ELj2EiiaaffEEvb20rocsparse_direction_T3_S2_llNS_24const_host_device_scalarIT7_EEPKT2_PKS2_PKT4_S2_PKT5_llS5_PT6_ll16rocsparse_order_21rocsparse_index_base_b.private_seg_size, 0
	.set _ZN9rocsparseL31bsrmm_large_blockdim_kernel_extILj16ELj16ELj2EiiaaffEEvb20rocsparse_direction_T3_S2_llNS_24const_host_device_scalarIT7_EEPKT2_PKS2_PKT4_S2_PKT5_llS5_PT6_ll16rocsparse_order_21rocsparse_index_base_b.uses_vcc, 1
	.set _ZN9rocsparseL31bsrmm_large_blockdim_kernel_extILj16ELj16ELj2EiiaaffEEvb20rocsparse_direction_T3_S2_llNS_24const_host_device_scalarIT7_EEPKT2_PKS2_PKT4_S2_PKT5_llS5_PT6_ll16rocsparse_order_21rocsparse_index_base_b.uses_flat_scratch, 0
	.set _ZN9rocsparseL31bsrmm_large_blockdim_kernel_extILj16ELj16ELj2EiiaaffEEvb20rocsparse_direction_T3_S2_llNS_24const_host_device_scalarIT7_EEPKT2_PKS2_PKT4_S2_PKT5_llS5_PT6_ll16rocsparse_order_21rocsparse_index_base_b.has_dyn_sized_stack, 0
	.set _ZN9rocsparseL31bsrmm_large_blockdim_kernel_extILj16ELj16ELj2EiiaaffEEvb20rocsparse_direction_T3_S2_llNS_24const_host_device_scalarIT7_EEPKT2_PKS2_PKT4_S2_PKT5_llS5_PT6_ll16rocsparse_order_21rocsparse_index_base_b.has_recursion, 0
	.set _ZN9rocsparseL31bsrmm_large_blockdim_kernel_extILj16ELj16ELj2EiiaaffEEvb20rocsparse_direction_T3_S2_llNS_24const_host_device_scalarIT7_EEPKT2_PKS2_PKT4_S2_PKT5_llS5_PT6_ll16rocsparse_order_21rocsparse_index_base_b.has_indirect_call, 0
	.section	.AMDGPU.csdata,"",@progbits
; Kernel info:
; codeLenInByte = 1632
; TotalNumSgprs: 46
; NumVgprs: 26
; NumAgprs: 0
; TotalNumVgprs: 26
; ScratchSize: 0
; MemoryBound: 0
; FloatMode: 240
; IeeeMode: 1
; LDSByteSize: 3072 bytes/workgroup (compile time only)
; SGPRBlocks: 5
; VGPRBlocks: 3
; NumSGPRsForWavesPerEU: 46
; NumVGPRsForWavesPerEU: 26
; AccumOffset: 28
; Occupancy: 8
; WaveLimiterHint : 1
; COMPUTE_PGM_RSRC2:SCRATCH_EN: 0
; COMPUTE_PGM_RSRC2:USER_SGPR: 2
; COMPUTE_PGM_RSRC2:TRAP_HANDLER: 0
; COMPUTE_PGM_RSRC2:TGID_X_EN: 1
; COMPUTE_PGM_RSRC2:TGID_Y_EN: 1
; COMPUTE_PGM_RSRC2:TGID_Z_EN: 0
; COMPUTE_PGM_RSRC2:TIDIG_COMP_CNT: 1
; COMPUTE_PGM_RSRC3_GFX90A:ACCUM_OFFSET: 6
; COMPUTE_PGM_RSRC3_GFX90A:TG_SPLIT: 0
	.section	.text._ZN9rocsparseL31bsrmm_large_blockdim_kernel_extILj32ELj32ELj2EiiaaffEEvb20rocsparse_direction_T3_S2_llNS_24const_host_device_scalarIT7_EEPKT2_PKS2_PKT4_S2_PKT5_llS5_PT6_ll16rocsparse_order_21rocsparse_index_base_b,"axG",@progbits,_ZN9rocsparseL31bsrmm_large_blockdim_kernel_extILj32ELj32ELj2EiiaaffEEvb20rocsparse_direction_T3_S2_llNS_24const_host_device_scalarIT7_EEPKT2_PKS2_PKT4_S2_PKT5_llS5_PT6_ll16rocsparse_order_21rocsparse_index_base_b,comdat
	.globl	_ZN9rocsparseL31bsrmm_large_blockdim_kernel_extILj32ELj32ELj2EiiaaffEEvb20rocsparse_direction_T3_S2_llNS_24const_host_device_scalarIT7_EEPKT2_PKS2_PKT4_S2_PKT5_llS5_PT6_ll16rocsparse_order_21rocsparse_index_base_b ; -- Begin function _ZN9rocsparseL31bsrmm_large_blockdim_kernel_extILj32ELj32ELj2EiiaaffEEvb20rocsparse_direction_T3_S2_llNS_24const_host_device_scalarIT7_EEPKT2_PKS2_PKT4_S2_PKT5_llS5_PT6_ll16rocsparse_order_21rocsparse_index_base_b
	.p2align	8
	.type	_ZN9rocsparseL31bsrmm_large_blockdim_kernel_extILj32ELj32ELj2EiiaaffEEvb20rocsparse_direction_T3_S2_llNS_24const_host_device_scalarIT7_EEPKT2_PKS2_PKT4_S2_PKT5_llS5_PT6_ll16rocsparse_order_21rocsparse_index_base_b,@function
_ZN9rocsparseL31bsrmm_large_blockdim_kernel_extILj32ELj32ELj2EiiaaffEEvb20rocsparse_direction_T3_S2_llNS_24const_host_device_scalarIT7_EEPKT2_PKS2_PKT4_S2_PKT5_llS5_PT6_ll16rocsparse_order_21rocsparse_index_base_b: ; @_ZN9rocsparseL31bsrmm_large_blockdim_kernel_extILj32ELj32ELj2EiiaaffEEvb20rocsparse_direction_T3_S2_llNS_24const_host_device_scalarIT7_EEPKT2_PKS2_PKT4_S2_PKT5_llS5_PT6_ll16rocsparse_order_21rocsparse_index_base_b
; %bb.0:
	s_load_dwordx4 s[16:19], s[0:1], 0x80
	s_mov_b32 s4, s3
	s_waitcnt lgkmcnt(0)
	s_bitcmp1_b32 s18, 0
	s_load_dwordx2 s[18:19], s[0:1], 0x20
	s_load_dwordx2 s[28:29], s[0:1], 0x60
	s_cselect_b64 s[8:9], -1, 0
	s_xor_b64 s[6:7], s[8:9], -1
	s_and_b64 vcc, exec, s[8:9]
	s_cbranch_vccnz .LBB75_2
; %bb.1:
	s_waitcnt lgkmcnt(0)
	s_load_dword s18, s[18:19], 0x0
.LBB75_2:
	s_andn2_b64 vcc, exec, s[6:7]
	s_cbranch_vccnz .LBB75_4
; %bb.3:
	s_waitcnt lgkmcnt(0)
	s_load_dword s28, s[28:29], 0x0
.LBB75_4:
	s_waitcnt lgkmcnt(0)
	v_cmp_eq_f32_e64 s[6:7], s18, 0
	v_cmp_eq_f32_e64 s[8:9], s28, 1.0
	s_and_b64 s[6:7], s[6:7], s[8:9]
	s_mov_b32 s34, 0
	s_and_b64 vcc, exec, s[6:7]
	s_cbranch_vccnz .LBB75_48
; %bb.5:
	s_load_dwordx4 s[12:15], s[0:1], 0x0
	s_load_dwordx2 s[6:7], s[0:1], 0x28
	s_waitcnt lgkmcnt(0)
	s_cmp_lt_i32 s2, s14
	s_cselect_b64 s[30:31], -1, 0
	s_cmp_ge_i32 s2, s14
	s_cbranch_scc1 .LBB75_7
; %bb.6:
	s_ashr_i32 s3, s2, 31
	s_lshl_b64 s[8:9], s[2:3], 2
	s_add_u32 s8, s6, s8
	s_addc_u32 s9, s7, s9
	s_load_dword s3, s[8:9], 0x0
	s_waitcnt lgkmcnt(0)
	s_sub_i32 s34, s3, s17
.LBB75_7:
	s_andn2_b64 vcc, exec, s[30:31]
	s_mov_b32 s14, 0
	s_cbranch_vccnz .LBB75_9
; %bb.8:
	s_ashr_i32 s3, s2, 31
	s_lshl_b64 s[8:9], s[2:3], 2
	s_add_u32 s6, s6, s8
	s_addc_u32 s7, s7, s9
	s_load_dword s3, s[6:7], 0x4
	s_waitcnt lgkmcnt(0)
	s_sub_i32 s14, s3, s17
.LBB75_9:
	s_load_dwordx2 s[36:37], s[0:1], 0x68
	s_load_dword s3, s[0:1], 0x40
	v_bfe_u32 v8, v0, 10, 10
	v_lshl_add_u32 v4, s4, 6, v8
	v_add_u32_e32 v2, 32, v4
	v_and_b32_e32 v6, 0x3ff, v0
	s_waitcnt lgkmcnt(0)
	v_cmp_gt_i32_e32 vcc, s3, v6
	s_cmp_ge_i32 s34, s14
	v_cmp_gt_i32_e64 s[4:5], s15, v4
	v_cmp_gt_i32_e64 s[6:7], s15, v2
	s_cbranch_scc1 .LBB75_27
; %bb.10:
	s_load_dwordx4 s[20:23], s[0:1], 0x30
	s_load_dwordx4 s[24:27], s[0:1], 0x48
	v_cmp_gt_i32_e64 s[8:9], s3, v8
	s_and_b64 s[38:39], vcc, s[8:9]
	v_mov_b32_e32 v0, 0x2000
	v_lshlrev_b32_e32 v7, 7, v8
	s_bitcmp1_b32 s12, 0
	v_lshl_or_b32 v14, v8, 2, v0
	v_mad_u64_u32 v[0:1], s[10:11], s3, v8, v[6:7]
	v_ashrrev_i32_e32 v5, 31, v4
	s_cselect_b64 s[8:9], -1, 0
	s_cmp_eq_u32 s13, 0
	v_mad_u64_u32 v[12:13], s[10:11], s3, v6, v[8:9]
	s_waitcnt lgkmcnt(0)
	v_mul_lo_u32 v1, s27, v4
	v_mul_lo_u32 v3, s26, v5
	v_mad_u64_u32 v[8:9], s[10:11], s26, v4, 0
	v_mad_u64_u32 v[10:11], s[10:11], s26, v2, 0
	v_add3_u32 v9, v9, v3, v1
	v_ashrrev_i32_e32 v3, 31, v2
	s_cselect_b64 s[10:11], -1, 0
	v_lshlrev_b32_e32 v15, 2, v6
	v_lshlrev_b32_e32 v20, 7, v6
	v_mul_lo_u32 v1, s27, v2
	v_mul_lo_u32 v13, s26, v3
	v_cndmask_b32_e64 v16, v0, v12, s[10:11]
	v_mov_b32_e32 v0, 0
	s_mul_i32 s19, s3, s3
	v_add3_u32 v11, v11, v13, v1
	v_add_u32_e32 v17, 0x2000, v20
	v_add_u32_e32 v18, 0x1000, v7
	v_mov_b32_e32 v1, v0
	v_add_u32_e32 v19, v15, v7
	v_add_u32_e32 v20, v14, v20
	s_branch .LBB75_13
.LBB75_11:                              ;   in Loop: Header=BB75_13 Depth=1
	s_or_b64 exec, exec, s[12:13]
.LBB75_12:                              ;   in Loop: Header=BB75_13 Depth=1
	s_or_b64 exec, exec, s[10:11]
	s_add_i32 s34, s34, 1
	s_cmp_ge_i32 s34, s14
	s_barrier
	s_cbranch_scc1 .LBB75_28
.LBB75_13:                              ; =>This Loop Header: Depth=1
                                        ;     Child Loop BB75_23 Depth 2
                                        ;     Child Loop BB75_26 Depth 2
	s_and_saveexec_b64 s[10:11], vcc
	s_cbranch_execz .LBB75_18
; %bb.14:                               ;   in Loop: Header=BB75_13 Depth=1
	s_ashr_i32 s35, s34, 31
	s_lshl_b64 s[12:13], s[34:35], 2
	s_add_u32 s12, s20, s12
	s_addc_u32 s13, s21, s13
	s_load_dword s12, s[12:13], 0x0
	v_mov_b64_e32 v[12:13], s[24:25]
	s_waitcnt lgkmcnt(0)
	s_sub_i32 s12, s12, s17
	s_mul_i32 s12, s12, s3
	v_add_u32_e32 v14, s12, v6
	v_ashrrev_i32_e32 v15, 31, v14
	v_mul_lo_u32 v21, s27, v14
	v_mad_u64_u32 v[12:13], s[12:13], s26, v14, v[12:13]
	v_mul_lo_u32 v22, s26, v15
	v_add3_u32 v13, v21, v13, v22
	v_lshl_add_u64 v[14:15], s[24:25], 0, v[14:15]
	s_and_saveexec_b64 s[12:13], s[4:5]
	s_cbranch_execz .LBB75_16
; %bb.15:                               ;   in Loop: Header=BB75_13 Depth=1
	v_lshl_add_u64 v[22:23], v[12:13], 0, v[4:5]
	v_lshl_add_u64 v[24:25], v[14:15], 0, v[8:9]
	v_cndmask_b32_e64 v23, v23, v25, s[8:9]
	v_cndmask_b32_e64 v22, v22, v24, s[8:9]
	global_load_sbyte v21, v[22:23], off
	s_waitcnt vmcnt(0)
	v_cvt_f32_i32_e32 v21, v21
	ds_write_b32 v19, v21
.LBB75_16:                              ;   in Loop: Header=BB75_13 Depth=1
	s_or_b64 exec, exec, s[12:13]
	s_and_b64 exec, exec, s[6:7]
	s_cbranch_execz .LBB75_18
; %bb.17:                               ;   in Loop: Header=BB75_13 Depth=1
	v_lshl_add_u64 v[14:15], v[14:15], 0, v[10:11]
	v_lshl_add_u64 v[12:13], v[12:13], 0, v[2:3]
	v_cndmask_b32_e64 v13, v13, v15, s[8:9]
	v_cndmask_b32_e64 v12, v12, v14, s[8:9]
	global_load_sbyte v12, v[12:13], off
	s_waitcnt vmcnt(0)
	v_cvt_f32_i32_e32 v12, v12
	ds_write_b32 v19, v12 offset:4096
.LBB75_18:                              ;   in Loop: Header=BB75_13 Depth=1
	s_or_b64 exec, exec, s[10:11]
	s_and_saveexec_b64 s[10:11], s[38:39]
	s_cbranch_execz .LBB75_20
; %bb.19:                               ;   in Loop: Header=BB75_13 Depth=1
	s_mul_i32 s12, s19, s34
	v_add_u32_e32 v12, s12, v16
	v_ashrrev_i32_e32 v13, 31, v12
	v_lshl_add_u64 v[12:13], s[22:23], 0, v[12:13]
	global_load_sbyte v12, v[12:13], off
	s_waitcnt vmcnt(0)
	v_cvt_f32_i32_e32 v12, v12
	ds_write_b32 v20, v12
.LBB75_20:                              ;   in Loop: Header=BB75_13 Depth=1
	s_or_b64 exec, exec, s[10:11]
	s_waitcnt lgkmcnt(0)
	s_barrier
	s_and_saveexec_b64 s[10:11], vcc
	s_cbranch_execz .LBB75_12
; %bb.21:                               ;   in Loop: Header=BB75_13 Depth=1
	s_and_saveexec_b64 s[12:13], s[4:5]
	s_cbranch_execz .LBB75_24
; %bb.22:                               ;   in Loop: Header=BB75_13 Depth=1
	v_mov_b32_e32 v12, v17
	v_mov_b32_e32 v13, v7
	s_mov_b32 s29, s3
.LBB75_23:                              ;   Parent Loop BB75_13 Depth=1
                                        ; =>  This Inner Loop Header: Depth=2
	ds_read_b32 v14, v12
	ds_read_b32 v15, v13
	s_add_i32 s29, s29, -1
	v_add_u32_e32 v13, 4, v13
	v_add_u32_e32 v12, 4, v12
	s_cmp_lg_u32 s29, 0
	s_waitcnt lgkmcnt(0)
	v_fma_f32 v0, v14, v15, v0
	s_cbranch_scc1 .LBB75_23
.LBB75_24:                              ;   in Loop: Header=BB75_13 Depth=1
	s_or_b64 exec, exec, s[12:13]
	s_and_saveexec_b64 s[12:13], s[6:7]
	s_cbranch_execz .LBB75_11
; %bb.25:                               ;   in Loop: Header=BB75_13 Depth=1
	v_mov_b32_e32 v12, v17
	s_mov_b32 s29, s3
	v_mov_b32_e32 v13, v18
.LBB75_26:                              ;   Parent Loop BB75_13 Depth=1
                                        ; =>  This Inner Loop Header: Depth=2
	ds_read_b32 v14, v12
	ds_read_b32 v15, v13
	s_add_i32 s29, s29, -1
	v_add_u32_e32 v13, 4, v13
	v_add_u32_e32 v12, 4, v12
	s_cmp_lg_u32 s29, 0
	s_waitcnt lgkmcnt(0)
	v_fma_f32 v1, v14, v15, v1
	s_cbranch_scc1 .LBB75_26
	s_branch .LBB75_11
.LBB75_27:
	v_mov_b32_e32 v0, 0
	v_mov_b32_e32 v1, v0
.LBB75_28:
	s_and_b64 s[4:5], s[30:31], vcc
	s_and_saveexec_b64 s[6:7], s[4:5]
	s_cbranch_execz .LBB75_48
; %bb.29:
	s_mul_i32 s2, s3, s2
	v_add_u32_e32 v6, s2, v6
	s_load_dwordx2 s[2:3], s[0:1], 0x70
	v_ashrrev_i32_e32 v7, 31, v6
	s_cmp_lg_u32 s16, 1
	v_cmp_neq_f32_e64 s[0:1], s28, 0
	s_cselect_b64 s[4:5], -1, 0
	s_waitcnt lgkmcnt(0)
	v_mul_lo_u32 v3, s2, v7
	v_mul_lo_u32 v5, s3, v6
	v_mad_u64_u32 v[8:9], s[6:7], s2, v6, 0
	v_add3_u32 v9, v9, v3, v5
	v_lshl_add_u64 v[8:9], v[8:9], 2, s[36:37]
	v_lshl_add_u64 v[6:7], v[6:7], 2, s[36:37]
	v_cmp_gt_i32_e32 vcc, s15, v4
	s_and_saveexec_b64 s[6:7], vcc
	s_cbranch_execz .LBB75_41
; %bb.30:
	s_and_b64 vcc, exec, s[0:1]
	v_ashrrev_i32_e32 v5, 31, v4
	s_mov_b64 s[8:9], -1
	s_cbranch_vccz .LBB75_36
; %bb.31:
	s_and_b64 vcc, exec, s[4:5]
	s_cbranch_vccz .LBB75_33
; %bb.32:
	v_lshl_add_u64 v[10:11], v[4:5], 2, v[8:9]
	global_load_dword v3, v[10:11], off
	v_mul_f32_e32 v12, s18, v0
	s_mov_b64 s[8:9], 0
	s_waitcnt vmcnt(0)
	v_fmac_f32_e32 v12, s28, v3
	global_store_dword v[10:11], v12, off
.LBB75_33:
	s_andn2_b64 vcc, exec, s[8:9]
	s_cbranch_vccnz .LBB75_35
; %bb.34:
	v_mul_lo_u32 v3, s3, v4
	v_mul_lo_u32 v12, s2, v5
	v_mad_u64_u32 v[10:11], s[8:9], s2, v4, 0
	v_add3_u32 v11, v11, v12, v3
	v_lshl_add_u64 v[10:11], v[10:11], 2, v[6:7]
	global_load_dword v3, v[10:11], off
	v_mul_f32_e32 v12, s18, v0
	s_waitcnt vmcnt(0)
	v_fmac_f32_e32 v12, s28, v3
	global_store_dword v[10:11], v12, off
.LBB75_35:
	s_mov_b64 s[8:9], 0
.LBB75_36:
	s_andn2_b64 vcc, exec, s[8:9]
	s_cbranch_vccnz .LBB75_41
; %bb.37:
	v_mul_f32_e32 v0, s18, v0
	s_mov_b64 s[8:9], -1
	s_and_b64 vcc, exec, s[4:5]
	s_cbranch_vccz .LBB75_39
; %bb.38:
	v_lshl_add_u64 v[10:11], v[4:5], 2, v[8:9]
	global_store_dword v[10:11], v0, off
	s_mov_b64 s[8:9], 0
.LBB75_39:
	s_andn2_b64 vcc, exec, s[8:9]
	s_cbranch_vccnz .LBB75_41
; %bb.40:
	v_mul_lo_u32 v3, s3, v4
	v_mul_lo_u32 v10, s2, v5
	v_mad_u64_u32 v[4:5], s[8:9], s2, v4, 0
	v_add3_u32 v5, v5, v10, v3
	v_lshl_add_u64 v[4:5], v[4:5], 2, v[6:7]
	global_store_dword v[4:5], v0, off
.LBB75_41:
	s_or_b64 exec, exec, s[6:7]
	v_cmp_gt_i32_e32 vcc, s15, v2
	s_and_b64 exec, exec, vcc
	s_cbranch_execz .LBB75_48
; %bb.42:
	v_cndmask_b32_e64 v0, 0, 1, s[4:5]
	s_andn2_b64 vcc, exec, s[0:1]
	v_ashrrev_i32_e32 v3, 31, v2
	v_cmp_ne_u32_e64 s[0:1], 1, v0
	s_cbranch_vccnz .LBB75_49
; %bb.43:
	s_and_b64 vcc, exec, s[0:1]
	s_mov_b64 s[4:5], -1
	s_cbranch_vccnz .LBB75_45
; %bb.44:
	v_lshl_add_u64 v[4:5], v[2:3], 2, v[8:9]
	global_load_dword v0, v[4:5], off
	v_mul_f32_e32 v10, s18, v1
	s_mov_b64 s[4:5], 0
	s_waitcnt vmcnt(0)
	v_fmac_f32_e32 v10, s28, v0
	global_store_dword v[4:5], v10, off
.LBB75_45:
	s_andn2_b64 vcc, exec, s[4:5]
	s_cbranch_vccnz .LBB75_47
; %bb.46:
	v_mul_lo_u32 v0, s3, v2
	v_mul_lo_u32 v10, s2, v3
	v_mad_u64_u32 v[4:5], s[4:5], s2, v2, 0
	v_add3_u32 v5, v5, v10, v0
	v_lshl_add_u64 v[4:5], v[4:5], 2, v[6:7]
	global_load_dword v0, v[4:5], off
	v_mul_f32_e32 v10, s18, v1
	s_waitcnt vmcnt(0)
	v_fmac_f32_e32 v10, s28, v0
	global_store_dword v[4:5], v10, off
.LBB75_47:
	s_cbranch_execz .LBB75_50
.LBB75_48:
	s_endpgm
.LBB75_49:
.LBB75_50:
	v_mul_f32_e32 v0, s18, v1
	s_and_b64 vcc, exec, s[0:1]
	s_mov_b64 s[0:1], -1
	s_cbranch_vccnz .LBB75_52
; %bb.51:
	v_lshl_add_u64 v[4:5], v[2:3], 2, v[8:9]
	s_mov_b64 s[0:1], 0
	global_store_dword v[4:5], v0, off
.LBB75_52:
	s_andn2_b64 vcc, exec, s[0:1]
	s_cbranch_vccnz .LBB75_48
; %bb.53:
	v_mul_lo_u32 v1, s3, v2
	v_mul_lo_u32 v4, s2, v3
	v_mad_u64_u32 v[2:3], s[0:1], s2, v2, 0
	v_add3_u32 v3, v3, v4, v1
	v_lshl_add_u64 v[2:3], v[2:3], 2, v[6:7]
	global_store_dword v[2:3], v0, off
	s_endpgm
	.section	.rodata,"a",@progbits
	.p2align	6, 0x0
	.amdhsa_kernel _ZN9rocsparseL31bsrmm_large_blockdim_kernel_extILj32ELj32ELj2EiiaaffEEvb20rocsparse_direction_T3_S2_llNS_24const_host_device_scalarIT7_EEPKT2_PKS2_PKT4_S2_PKT5_llS5_PT6_ll16rocsparse_order_21rocsparse_index_base_b
		.amdhsa_group_segment_fixed_size 12288
		.amdhsa_private_segment_fixed_size 0
		.amdhsa_kernarg_size 140
		.amdhsa_user_sgpr_count 2
		.amdhsa_user_sgpr_dispatch_ptr 0
		.amdhsa_user_sgpr_queue_ptr 0
		.amdhsa_user_sgpr_kernarg_segment_ptr 1
		.amdhsa_user_sgpr_dispatch_id 0
		.amdhsa_user_sgpr_kernarg_preload_length 0
		.amdhsa_user_sgpr_kernarg_preload_offset 0
		.amdhsa_user_sgpr_private_segment_size 0
		.amdhsa_uses_dynamic_stack 0
		.amdhsa_enable_private_segment 0
		.amdhsa_system_sgpr_workgroup_id_x 1
		.amdhsa_system_sgpr_workgroup_id_y 1
		.amdhsa_system_sgpr_workgroup_id_z 0
		.amdhsa_system_sgpr_workgroup_info 0
		.amdhsa_system_vgpr_workitem_id 1
		.amdhsa_next_free_vgpr 26
		.amdhsa_next_free_sgpr 40
		.amdhsa_accum_offset 28
		.amdhsa_reserve_vcc 1
		.amdhsa_float_round_mode_32 0
		.amdhsa_float_round_mode_16_64 0
		.amdhsa_float_denorm_mode_32 3
		.amdhsa_float_denorm_mode_16_64 3
		.amdhsa_dx10_clamp 1
		.amdhsa_ieee_mode 1
		.amdhsa_fp16_overflow 0
		.amdhsa_tg_split 0
		.amdhsa_exception_fp_ieee_invalid_op 0
		.amdhsa_exception_fp_denorm_src 0
		.amdhsa_exception_fp_ieee_div_zero 0
		.amdhsa_exception_fp_ieee_overflow 0
		.amdhsa_exception_fp_ieee_underflow 0
		.amdhsa_exception_fp_ieee_inexact 0
		.amdhsa_exception_int_div_zero 0
	.end_amdhsa_kernel
	.section	.text._ZN9rocsparseL31bsrmm_large_blockdim_kernel_extILj32ELj32ELj2EiiaaffEEvb20rocsparse_direction_T3_S2_llNS_24const_host_device_scalarIT7_EEPKT2_PKS2_PKT4_S2_PKT5_llS5_PT6_ll16rocsparse_order_21rocsparse_index_base_b,"axG",@progbits,_ZN9rocsparseL31bsrmm_large_blockdim_kernel_extILj32ELj32ELj2EiiaaffEEvb20rocsparse_direction_T3_S2_llNS_24const_host_device_scalarIT7_EEPKT2_PKS2_PKT4_S2_PKT5_llS5_PT6_ll16rocsparse_order_21rocsparse_index_base_b,comdat
.Lfunc_end75:
	.size	_ZN9rocsparseL31bsrmm_large_blockdim_kernel_extILj32ELj32ELj2EiiaaffEEvb20rocsparse_direction_T3_S2_llNS_24const_host_device_scalarIT7_EEPKT2_PKS2_PKT4_S2_PKT5_llS5_PT6_ll16rocsparse_order_21rocsparse_index_base_b, .Lfunc_end75-_ZN9rocsparseL31bsrmm_large_blockdim_kernel_extILj32ELj32ELj2EiiaaffEEvb20rocsparse_direction_T3_S2_llNS_24const_host_device_scalarIT7_EEPKT2_PKS2_PKT4_S2_PKT5_llS5_PT6_ll16rocsparse_order_21rocsparse_index_base_b
                                        ; -- End function
	.set _ZN9rocsparseL31bsrmm_large_blockdim_kernel_extILj32ELj32ELj2EiiaaffEEvb20rocsparse_direction_T3_S2_llNS_24const_host_device_scalarIT7_EEPKT2_PKS2_PKT4_S2_PKT5_llS5_PT6_ll16rocsparse_order_21rocsparse_index_base_b.num_vgpr, 26
	.set _ZN9rocsparseL31bsrmm_large_blockdim_kernel_extILj32ELj32ELj2EiiaaffEEvb20rocsparse_direction_T3_S2_llNS_24const_host_device_scalarIT7_EEPKT2_PKS2_PKT4_S2_PKT5_llS5_PT6_ll16rocsparse_order_21rocsparse_index_base_b.num_agpr, 0
	.set _ZN9rocsparseL31bsrmm_large_blockdim_kernel_extILj32ELj32ELj2EiiaaffEEvb20rocsparse_direction_T3_S2_llNS_24const_host_device_scalarIT7_EEPKT2_PKS2_PKT4_S2_PKT5_llS5_PT6_ll16rocsparse_order_21rocsparse_index_base_b.numbered_sgpr, 40
	.set _ZN9rocsparseL31bsrmm_large_blockdim_kernel_extILj32ELj32ELj2EiiaaffEEvb20rocsparse_direction_T3_S2_llNS_24const_host_device_scalarIT7_EEPKT2_PKS2_PKT4_S2_PKT5_llS5_PT6_ll16rocsparse_order_21rocsparse_index_base_b.num_named_barrier, 0
	.set _ZN9rocsparseL31bsrmm_large_blockdim_kernel_extILj32ELj32ELj2EiiaaffEEvb20rocsparse_direction_T3_S2_llNS_24const_host_device_scalarIT7_EEPKT2_PKS2_PKT4_S2_PKT5_llS5_PT6_ll16rocsparse_order_21rocsparse_index_base_b.private_seg_size, 0
	.set _ZN9rocsparseL31bsrmm_large_blockdim_kernel_extILj32ELj32ELj2EiiaaffEEvb20rocsparse_direction_T3_S2_llNS_24const_host_device_scalarIT7_EEPKT2_PKS2_PKT4_S2_PKT5_llS5_PT6_ll16rocsparse_order_21rocsparse_index_base_b.uses_vcc, 1
	.set _ZN9rocsparseL31bsrmm_large_blockdim_kernel_extILj32ELj32ELj2EiiaaffEEvb20rocsparse_direction_T3_S2_llNS_24const_host_device_scalarIT7_EEPKT2_PKS2_PKT4_S2_PKT5_llS5_PT6_ll16rocsparse_order_21rocsparse_index_base_b.uses_flat_scratch, 0
	.set _ZN9rocsparseL31bsrmm_large_blockdim_kernel_extILj32ELj32ELj2EiiaaffEEvb20rocsparse_direction_T3_S2_llNS_24const_host_device_scalarIT7_EEPKT2_PKS2_PKT4_S2_PKT5_llS5_PT6_ll16rocsparse_order_21rocsparse_index_base_b.has_dyn_sized_stack, 0
	.set _ZN9rocsparseL31bsrmm_large_blockdim_kernel_extILj32ELj32ELj2EiiaaffEEvb20rocsparse_direction_T3_S2_llNS_24const_host_device_scalarIT7_EEPKT2_PKS2_PKT4_S2_PKT5_llS5_PT6_ll16rocsparse_order_21rocsparse_index_base_b.has_recursion, 0
	.set _ZN9rocsparseL31bsrmm_large_blockdim_kernel_extILj32ELj32ELj2EiiaaffEEvb20rocsparse_direction_T3_S2_llNS_24const_host_device_scalarIT7_EEPKT2_PKS2_PKT4_S2_PKT5_llS5_PT6_ll16rocsparse_order_21rocsparse_index_base_b.has_indirect_call, 0
	.section	.AMDGPU.csdata,"",@progbits
; Kernel info:
; codeLenInByte = 1632
; TotalNumSgprs: 46
; NumVgprs: 26
; NumAgprs: 0
; TotalNumVgprs: 26
; ScratchSize: 0
; MemoryBound: 0
; FloatMode: 240
; IeeeMode: 1
; LDSByteSize: 12288 bytes/workgroup (compile time only)
; SGPRBlocks: 5
; VGPRBlocks: 3
; NumSGPRsForWavesPerEU: 46
; NumVGPRsForWavesPerEU: 26
; AccumOffset: 28
; Occupancy: 8
; WaveLimiterHint : 1
; COMPUTE_PGM_RSRC2:SCRATCH_EN: 0
; COMPUTE_PGM_RSRC2:USER_SGPR: 2
; COMPUTE_PGM_RSRC2:TRAP_HANDLER: 0
; COMPUTE_PGM_RSRC2:TGID_X_EN: 1
; COMPUTE_PGM_RSRC2:TGID_Y_EN: 1
; COMPUTE_PGM_RSRC2:TGID_Z_EN: 0
; COMPUTE_PGM_RSRC2:TIDIG_COMP_CNT: 1
; COMPUTE_PGM_RSRC3_GFX90A:ACCUM_OFFSET: 6
; COMPUTE_PGM_RSRC3_GFX90A:TG_SPLIT: 0
	.section	.text._ZN9rocsparseL31bsrmm_large_blockdim_kernel_extILj8ELj8ELj2EliaaffEEvb20rocsparse_direction_T3_S2_llNS_24const_host_device_scalarIT7_EEPKT2_PKS2_PKT4_S2_PKT5_llS5_PT6_ll16rocsparse_order_21rocsparse_index_base_b,"axG",@progbits,_ZN9rocsparseL31bsrmm_large_blockdim_kernel_extILj8ELj8ELj2EliaaffEEvb20rocsparse_direction_T3_S2_llNS_24const_host_device_scalarIT7_EEPKT2_PKS2_PKT4_S2_PKT5_llS5_PT6_ll16rocsparse_order_21rocsparse_index_base_b,comdat
	.globl	_ZN9rocsparseL31bsrmm_large_blockdim_kernel_extILj8ELj8ELj2EliaaffEEvb20rocsparse_direction_T3_S2_llNS_24const_host_device_scalarIT7_EEPKT2_PKS2_PKT4_S2_PKT5_llS5_PT6_ll16rocsparse_order_21rocsparse_index_base_b ; -- Begin function _ZN9rocsparseL31bsrmm_large_blockdim_kernel_extILj8ELj8ELj2EliaaffEEvb20rocsparse_direction_T3_S2_llNS_24const_host_device_scalarIT7_EEPKT2_PKS2_PKT4_S2_PKT5_llS5_PT6_ll16rocsparse_order_21rocsparse_index_base_b
	.p2align	8
	.type	_ZN9rocsparseL31bsrmm_large_blockdim_kernel_extILj8ELj8ELj2EliaaffEEvb20rocsparse_direction_T3_S2_llNS_24const_host_device_scalarIT7_EEPKT2_PKS2_PKT4_S2_PKT5_llS5_PT6_ll16rocsparse_order_21rocsparse_index_base_b,@function
_ZN9rocsparseL31bsrmm_large_blockdim_kernel_extILj8ELj8ELj2EliaaffEEvb20rocsparse_direction_T3_S2_llNS_24const_host_device_scalarIT7_EEPKT2_PKS2_PKT4_S2_PKT5_llS5_PT6_ll16rocsparse_order_21rocsparse_index_base_b: ; @_ZN9rocsparseL31bsrmm_large_blockdim_kernel_extILj8ELj8ELj2EliaaffEEvb20rocsparse_direction_T3_S2_llNS_24const_host_device_scalarIT7_EEPKT2_PKS2_PKT4_S2_PKT5_llS5_PT6_ll16rocsparse_order_21rocsparse_index_base_b
; %bb.0:
	s_load_dwordx4 s[16:19], s[0:1], 0x80
	s_mov_b32 s4, s3
	s_waitcnt lgkmcnt(0)
	s_bitcmp1_b32 s18, 0
	s_load_dwordx2 s[18:19], s[0:1], 0x20
	s_load_dwordx2 s[28:29], s[0:1], 0x60
	s_cselect_b64 s[8:9], -1, 0
	s_xor_b64 s[6:7], s[8:9], -1
	s_and_b64 vcc, exec, s[8:9]
	s_cbranch_vccnz .LBB76_2
; %bb.1:
	s_waitcnt lgkmcnt(0)
	s_load_dword s18, s[18:19], 0x0
.LBB76_2:
	s_andn2_b64 vcc, exec, s[6:7]
	s_cbranch_vccnz .LBB76_4
; %bb.3:
	s_waitcnt lgkmcnt(0)
	s_load_dword s28, s[28:29], 0x0
.LBB76_4:
	s_waitcnt lgkmcnt(0)
	v_cmp_eq_f32_e64 s[6:7], s18, 0
	v_cmp_eq_f32_e64 s[8:9], s28, 1.0
	s_and_b64 s[6:7], s[6:7], s[8:9]
	s_and_b64 vcc, exec, s[6:7]
	s_cbranch_vccnz .LBB76_48
; %bb.5:
	s_load_dwordx4 s[12:15], s[0:1], 0x0
	s_load_dwordx2 s[6:7], s[0:1], 0x28
	s_mov_b64 s[34:35], 0
	s_mov_b64 s[38:39], 0
	s_waitcnt lgkmcnt(0)
	s_cmp_lt_i32 s2, s14
	s_cselect_b64 s[30:31], -1, 0
	s_cmp_ge_i32 s2, s14
	s_cbranch_scc1 .LBB76_7
; %bb.6:
	s_ashr_i32 s3, s2, 31
	s_lshl_b64 s[8:9], s[2:3], 3
	s_add_u32 s8, s6, s8
	s_addc_u32 s9, s7, s9
	s_load_dwordx2 s[8:9], s[8:9], 0x0
	s_waitcnt lgkmcnt(0)
	s_sub_u32 s38, s8, s17
	s_subb_u32 s39, s9, 0
.LBB76_7:
	s_andn2_b64 vcc, exec, s[30:31]
	s_cbranch_vccnz .LBB76_9
; %bb.8:
	s_ashr_i32 s3, s2, 31
	s_lshl_b64 s[8:9], s[2:3], 3
	s_add_u32 s6, s6, s8
	s_addc_u32 s7, s7, s9
	s_load_dwordx2 s[6:7], s[6:7], 0x8
	s_waitcnt lgkmcnt(0)
	s_sub_u32 s34, s6, s17
	s_subb_u32 s35, s7, 0
.LBB76_9:
	s_load_dwordx2 s[36:37], s[0:1], 0x68
	s_load_dword s3, s[0:1], 0x40
	v_bfe_u32 v8, v0, 10, 10
	v_lshl_add_u32 v4, s4, 4, v8
	v_and_b32_e32 v6, 0x3ff, v0
	v_mov_b64_e32 v[0:1], s[34:35]
	v_add_u32_e32 v2, 8, v4
	v_cmp_ge_i64_e32 vcc, s[38:39], v[0:1]
	s_waitcnt lgkmcnt(0)
	v_cmp_gt_i32_e64 s[4:5], s3, v6
	v_cmp_gt_i32_e64 s[6:7], s15, v4
	;; [unrolled: 1-line block ×3, first 2 shown]
	s_cbranch_vccnz .LBB76_27
; %bb.10:
	s_load_dwordx4 s[20:23], s[0:1], 0x30
	s_load_dwordx4 s[24:27], s[0:1], 0x48
	v_mov_b32_e32 v0, 0x200
	v_cmp_gt_i32_e32 vcc, s3, v8
	v_lshl_add_u32 v16, v8, 2, v0
	v_mul_lo_u32 v0, s3, v8
	v_mov_b32_e32 v1, 0
	s_and_b64 s[40:41], s[4:5], vcc
	v_mov_b32_e32 v7, v1
	s_waitcnt lgkmcnt(0)
	v_lshl_add_u64 v[10:11], s[22:23], 0, v[0:1]
	v_mul_lo_u32 v0, s3, v6
	s_bitcmp1_b32 s12, 0
	v_lshl_add_u64 v[12:13], v[10:11], 0, v[6:7]
	v_mov_b32_e32 v9, v1
	v_lshl_add_u64 v[10:11], s[22:23], 0, v[0:1]
	v_ashrrev_i32_e32 v5, 31, v4
	s_cselect_b64 s[10:11], -1, 0
	v_lshlrev_b32_e32 v18, 5, v8
	s_cmp_eq_u32 s13, 0
	v_lshl_add_u64 v[14:15], v[10:11], 0, v[8:9]
	v_mul_lo_u32 v0, s27, v4
	v_mul_lo_u32 v3, s26, v5
	v_mad_u64_u32 v[8:9], s[12:13], s26, v4, 0
	v_add3_u32 v9, v9, v3, v0
	v_ashrrev_i32_e32 v3, 31, v2
	v_lshlrev_b32_e32 v17, 2, v6
	v_lshlrev_b32_e32 v21, 5, v6
	v_mul_lo_u32 v0, s27, v2
	v_mul_lo_u32 v7, s26, v3
	v_mad_u64_u32 v[10:11], s[12:13], s26, v2, 0
	s_cselect_b64 vcc, -1, 0
	s_mul_i32 s14, s3, s3
	v_add3_u32 v11, v11, v7, v0
	v_cndmask_b32_e32 v13, v13, v15, vcc
	v_cndmask_b32_e32 v12, v12, v14, vcc
	v_add_u32_e32 v7, 0x200, v21
	v_add_u32_e32 v19, 0x100, v18
	v_mov_b32_e32 v0, v1
	v_add_u32_e32 v20, v17, v18
	v_add_u32_e32 v21, v16, v21
	s_branch .LBB76_13
.LBB76_11:                              ;   in Loop: Header=BB76_13 Depth=1
	s_or_b64 exec, exec, s[22:23]
.LBB76_12:                              ;   in Loop: Header=BB76_13 Depth=1
	s_or_b64 exec, exec, s[12:13]
	s_add_u32 s38, s38, 1
	s_addc_u32 s39, s39, 0
	v_mov_b64_e32 v[14:15], s[34:35]
	v_cmp_ge_i64_e32 vcc, s[38:39], v[14:15]
	; wave barrier
	s_cbranch_vccnz .LBB76_28
.LBB76_13:                              ; =>This Loop Header: Depth=1
                                        ;     Child Loop BB76_23 Depth 2
                                        ;     Child Loop BB76_26 Depth 2
	s_and_saveexec_b64 s[12:13], s[4:5]
	s_cbranch_execz .LBB76_18
; %bb.14:                               ;   in Loop: Header=BB76_13 Depth=1
	s_lshl_b64 s[22:23], s[38:39], 2
	s_add_u32 s22, s20, s22
	s_addc_u32 s23, s21, s23
	s_load_dword s19, s[22:23], 0x0
	v_mov_b64_e32 v[14:15], s[24:25]
	s_waitcnt lgkmcnt(0)
	s_sub_i32 s19, s19, s17
	s_mul_i32 s19, s19, s3
	v_add_u32_e32 v16, s19, v6
	v_ashrrev_i32_e32 v17, 31, v16
	v_mul_lo_u32 v22, s27, v16
	v_mad_u64_u32 v[14:15], s[22:23], s26, v16, v[14:15]
	v_mul_lo_u32 v23, s26, v17
	v_add3_u32 v15, v22, v15, v23
	v_lshl_add_u64 v[16:17], s[24:25], 0, v[16:17]
	s_and_saveexec_b64 s[22:23], s[6:7]
	s_cbranch_execz .LBB76_16
; %bb.15:                               ;   in Loop: Header=BB76_13 Depth=1
	v_lshl_add_u64 v[22:23], v[14:15], 0, v[4:5]
	v_lshl_add_u64 v[24:25], v[16:17], 0, v[8:9]
	v_cndmask_b32_e64 v23, v23, v25, s[10:11]
	v_cndmask_b32_e64 v22, v22, v24, s[10:11]
	global_load_sbyte v22, v[22:23], off
	s_waitcnt vmcnt(0)
	v_cvt_f32_i32_e32 v22, v22
	ds_write_b32 v20, v22
.LBB76_16:                              ;   in Loop: Header=BB76_13 Depth=1
	s_or_b64 exec, exec, s[22:23]
	s_and_b64 exec, exec, s[8:9]
	s_cbranch_execz .LBB76_18
; %bb.17:                               ;   in Loop: Header=BB76_13 Depth=1
	v_lshl_add_u64 v[16:17], v[16:17], 0, v[10:11]
	v_lshl_add_u64 v[14:15], v[14:15], 0, v[2:3]
	v_cndmask_b32_e64 v15, v15, v17, s[10:11]
	v_cndmask_b32_e64 v14, v14, v16, s[10:11]
	global_load_sbyte v14, v[14:15], off
	s_waitcnt vmcnt(0)
	v_cvt_f32_i32_e32 v14, v14
	ds_write_b32 v20, v14 offset:256
.LBB76_18:                              ;   in Loop: Header=BB76_13 Depth=1
	s_or_b64 exec, exec, s[12:13]
	s_and_saveexec_b64 s[12:13], s[40:41]
	s_cbranch_execz .LBB76_20
; %bb.19:                               ;   in Loop: Header=BB76_13 Depth=1
	v_mov_b32_e32 v14, s14
	v_mad_u64_u32 v[14:15], s[22:23], s38, v14, v[12:13]
	s_mul_i32 s19, s39, s14
	v_add_u32_e32 v15, s19, v15
	global_load_sbyte v14, v[14:15], off
	s_waitcnt vmcnt(0)
	v_cvt_f32_i32_e32 v14, v14
	ds_write_b32 v21, v14
.LBB76_20:                              ;   in Loop: Header=BB76_13 Depth=1
	s_or_b64 exec, exec, s[12:13]
	s_waitcnt lgkmcnt(0)
	; wave barrier
	s_and_saveexec_b64 s[12:13], s[4:5]
	s_cbranch_execz .LBB76_12
; %bb.21:                               ;   in Loop: Header=BB76_13 Depth=1
	s_and_saveexec_b64 s[22:23], s[6:7]
	s_cbranch_execz .LBB76_24
; %bb.22:                               ;   in Loop: Header=BB76_13 Depth=1
	v_mov_b32_e32 v14, v7
	v_mov_b32_e32 v15, v18
	s_mov_b32 s19, s3
.LBB76_23:                              ;   Parent Loop BB76_13 Depth=1
                                        ; =>  This Inner Loop Header: Depth=2
	ds_read_b32 v16, v14
	ds_read_b32 v17, v15
	s_add_i32 s19, s19, -1
	v_add_u32_e32 v15, 4, v15
	v_add_u32_e32 v14, 4, v14
	s_cmp_lg_u32 s19, 0
	s_waitcnt lgkmcnt(0)
	v_fma_f32 v0, v16, v17, v0
	s_cbranch_scc1 .LBB76_23
.LBB76_24:                              ;   in Loop: Header=BB76_13 Depth=1
	s_or_b64 exec, exec, s[22:23]
	s_and_saveexec_b64 s[22:23], s[8:9]
	s_cbranch_execz .LBB76_11
; %bb.25:                               ;   in Loop: Header=BB76_13 Depth=1
	v_mov_b32_e32 v14, v7
	s_mov_b32 s19, s3
	v_mov_b32_e32 v15, v19
.LBB76_26:                              ;   Parent Loop BB76_13 Depth=1
                                        ; =>  This Inner Loop Header: Depth=2
	ds_read_b32 v16, v14
	ds_read_b32 v17, v15
	s_add_i32 s19, s19, -1
	v_add_u32_e32 v15, 4, v15
	v_add_u32_e32 v14, 4, v14
	s_cmp_lg_u32 s19, 0
	s_waitcnt lgkmcnt(0)
	v_fma_f32 v1, v16, v17, v1
	s_cbranch_scc1 .LBB76_26
	s_branch .LBB76_11
.LBB76_27:
	v_mov_b32_e32 v0, 0
	v_mov_b32_e32 v1, v0
.LBB76_28:
	s_and_b64 s[4:5], s[30:31], s[4:5]
	s_and_saveexec_b64 s[6:7], s[4:5]
	s_cbranch_execz .LBB76_48
; %bb.29:
	s_mul_i32 s2, s3, s2
	v_add_u32_e32 v6, s2, v6
	s_load_dwordx2 s[2:3], s[0:1], 0x70
	v_ashrrev_i32_e32 v7, 31, v6
	s_cmp_lg_u32 s16, 1
	v_cmp_neq_f32_e64 s[0:1], s28, 0
	s_cselect_b64 s[4:5], -1, 0
	s_waitcnt lgkmcnt(0)
	v_mul_lo_u32 v3, s2, v7
	v_mul_lo_u32 v5, s3, v6
	v_mad_u64_u32 v[8:9], s[6:7], s2, v6, 0
	v_add3_u32 v9, v9, v3, v5
	v_lshl_add_u64 v[8:9], v[8:9], 2, s[36:37]
	v_lshl_add_u64 v[6:7], v[6:7], 2, s[36:37]
	v_cmp_gt_i32_e32 vcc, s15, v4
	s_and_saveexec_b64 s[6:7], vcc
	s_cbranch_execz .LBB76_41
; %bb.30:
	s_and_b64 vcc, exec, s[0:1]
	v_ashrrev_i32_e32 v5, 31, v4
	s_mov_b64 s[8:9], -1
	s_cbranch_vccz .LBB76_36
; %bb.31:
	s_and_b64 vcc, exec, s[4:5]
	s_cbranch_vccz .LBB76_33
; %bb.32:
	v_lshl_add_u64 v[10:11], v[4:5], 2, v[8:9]
	global_load_dword v3, v[10:11], off
	v_mul_f32_e32 v12, s18, v0
	s_mov_b64 s[8:9], 0
	s_waitcnt vmcnt(0)
	v_fmac_f32_e32 v12, s28, v3
	global_store_dword v[10:11], v12, off
.LBB76_33:
	s_andn2_b64 vcc, exec, s[8:9]
	s_cbranch_vccnz .LBB76_35
; %bb.34:
	v_mul_lo_u32 v3, s3, v4
	v_mul_lo_u32 v12, s2, v5
	v_mad_u64_u32 v[10:11], s[8:9], s2, v4, 0
	v_add3_u32 v11, v11, v12, v3
	v_lshl_add_u64 v[10:11], v[10:11], 2, v[6:7]
	global_load_dword v3, v[10:11], off
	v_mul_f32_e32 v12, s18, v0
	s_waitcnt vmcnt(0)
	v_fmac_f32_e32 v12, s28, v3
	global_store_dword v[10:11], v12, off
.LBB76_35:
	s_mov_b64 s[8:9], 0
.LBB76_36:
	s_andn2_b64 vcc, exec, s[8:9]
	s_cbranch_vccnz .LBB76_41
; %bb.37:
	v_mul_f32_e32 v0, s18, v0
	s_mov_b64 s[8:9], -1
	s_and_b64 vcc, exec, s[4:5]
	s_cbranch_vccz .LBB76_39
; %bb.38:
	v_lshl_add_u64 v[10:11], v[4:5], 2, v[8:9]
	global_store_dword v[10:11], v0, off
	s_mov_b64 s[8:9], 0
.LBB76_39:
	s_andn2_b64 vcc, exec, s[8:9]
	s_cbranch_vccnz .LBB76_41
; %bb.40:
	v_mul_lo_u32 v3, s3, v4
	v_mul_lo_u32 v10, s2, v5
	v_mad_u64_u32 v[4:5], s[8:9], s2, v4, 0
	v_add3_u32 v5, v5, v10, v3
	v_lshl_add_u64 v[4:5], v[4:5], 2, v[6:7]
	global_store_dword v[4:5], v0, off
.LBB76_41:
	s_or_b64 exec, exec, s[6:7]
	v_cmp_gt_i32_e32 vcc, s15, v2
	s_and_b64 exec, exec, vcc
	s_cbranch_execz .LBB76_48
; %bb.42:
	v_cndmask_b32_e64 v0, 0, 1, s[4:5]
	s_andn2_b64 vcc, exec, s[0:1]
	v_ashrrev_i32_e32 v3, 31, v2
	v_cmp_ne_u32_e64 s[0:1], 1, v0
	s_cbranch_vccnz .LBB76_49
; %bb.43:
	s_and_b64 vcc, exec, s[0:1]
	s_mov_b64 s[4:5], -1
	s_cbranch_vccnz .LBB76_45
; %bb.44:
	v_lshl_add_u64 v[4:5], v[2:3], 2, v[8:9]
	global_load_dword v0, v[4:5], off
	v_mul_f32_e32 v10, s18, v1
	s_mov_b64 s[4:5], 0
	s_waitcnt vmcnt(0)
	v_fmac_f32_e32 v10, s28, v0
	global_store_dword v[4:5], v10, off
.LBB76_45:
	s_andn2_b64 vcc, exec, s[4:5]
	s_cbranch_vccnz .LBB76_47
; %bb.46:
	v_mul_lo_u32 v0, s3, v2
	v_mul_lo_u32 v10, s2, v3
	v_mad_u64_u32 v[4:5], s[4:5], s2, v2, 0
	v_add3_u32 v5, v5, v10, v0
	v_lshl_add_u64 v[4:5], v[4:5], 2, v[6:7]
	global_load_dword v0, v[4:5], off
	v_mul_f32_e32 v10, s18, v1
	s_waitcnt vmcnt(0)
	v_fmac_f32_e32 v10, s28, v0
	global_store_dword v[4:5], v10, off
.LBB76_47:
	s_cbranch_execz .LBB76_50
.LBB76_48:
	s_endpgm
.LBB76_49:
.LBB76_50:
	v_mul_f32_e32 v0, s18, v1
	s_and_b64 vcc, exec, s[0:1]
	s_mov_b64 s[0:1], -1
	s_cbranch_vccnz .LBB76_52
; %bb.51:
	v_lshl_add_u64 v[4:5], v[2:3], 2, v[8:9]
	s_mov_b64 s[0:1], 0
	global_store_dword v[4:5], v0, off
.LBB76_52:
	s_andn2_b64 vcc, exec, s[0:1]
	s_cbranch_vccnz .LBB76_48
; %bb.53:
	v_mul_lo_u32 v1, s3, v2
	v_mul_lo_u32 v4, s2, v3
	v_mad_u64_u32 v[2:3], s[0:1], s2, v2, 0
	v_add3_u32 v3, v3, v4, v1
	v_lshl_add_u64 v[2:3], v[2:3], 2, v[6:7]
	global_store_dword v[2:3], v0, off
	s_endpgm
	.section	.rodata,"a",@progbits
	.p2align	6, 0x0
	.amdhsa_kernel _ZN9rocsparseL31bsrmm_large_blockdim_kernel_extILj8ELj8ELj2EliaaffEEvb20rocsparse_direction_T3_S2_llNS_24const_host_device_scalarIT7_EEPKT2_PKS2_PKT4_S2_PKT5_llS5_PT6_ll16rocsparse_order_21rocsparse_index_base_b
		.amdhsa_group_segment_fixed_size 768
		.amdhsa_private_segment_fixed_size 0
		.amdhsa_kernarg_size 140
		.amdhsa_user_sgpr_count 2
		.amdhsa_user_sgpr_dispatch_ptr 0
		.amdhsa_user_sgpr_queue_ptr 0
		.amdhsa_user_sgpr_kernarg_segment_ptr 1
		.amdhsa_user_sgpr_dispatch_id 0
		.amdhsa_user_sgpr_kernarg_preload_length 0
		.amdhsa_user_sgpr_kernarg_preload_offset 0
		.amdhsa_user_sgpr_private_segment_size 0
		.amdhsa_uses_dynamic_stack 0
		.amdhsa_enable_private_segment 0
		.amdhsa_system_sgpr_workgroup_id_x 1
		.amdhsa_system_sgpr_workgroup_id_y 1
		.amdhsa_system_sgpr_workgroup_id_z 0
		.amdhsa_system_sgpr_workgroup_info 0
		.amdhsa_system_vgpr_workitem_id 1
		.amdhsa_next_free_vgpr 26
		.amdhsa_next_free_sgpr 42
		.amdhsa_accum_offset 28
		.amdhsa_reserve_vcc 1
		.amdhsa_float_round_mode_32 0
		.amdhsa_float_round_mode_16_64 0
		.amdhsa_float_denorm_mode_32 3
		.amdhsa_float_denorm_mode_16_64 3
		.amdhsa_dx10_clamp 1
		.amdhsa_ieee_mode 1
		.amdhsa_fp16_overflow 0
		.amdhsa_tg_split 0
		.amdhsa_exception_fp_ieee_invalid_op 0
		.amdhsa_exception_fp_denorm_src 0
		.amdhsa_exception_fp_ieee_div_zero 0
		.amdhsa_exception_fp_ieee_overflow 0
		.amdhsa_exception_fp_ieee_underflow 0
		.amdhsa_exception_fp_ieee_inexact 0
		.amdhsa_exception_int_div_zero 0
	.end_amdhsa_kernel
	.section	.text._ZN9rocsparseL31bsrmm_large_blockdim_kernel_extILj8ELj8ELj2EliaaffEEvb20rocsparse_direction_T3_S2_llNS_24const_host_device_scalarIT7_EEPKT2_PKS2_PKT4_S2_PKT5_llS5_PT6_ll16rocsparse_order_21rocsparse_index_base_b,"axG",@progbits,_ZN9rocsparseL31bsrmm_large_blockdim_kernel_extILj8ELj8ELj2EliaaffEEvb20rocsparse_direction_T3_S2_llNS_24const_host_device_scalarIT7_EEPKT2_PKS2_PKT4_S2_PKT5_llS5_PT6_ll16rocsparse_order_21rocsparse_index_base_b,comdat
.Lfunc_end76:
	.size	_ZN9rocsparseL31bsrmm_large_blockdim_kernel_extILj8ELj8ELj2EliaaffEEvb20rocsparse_direction_T3_S2_llNS_24const_host_device_scalarIT7_EEPKT2_PKS2_PKT4_S2_PKT5_llS5_PT6_ll16rocsparse_order_21rocsparse_index_base_b, .Lfunc_end76-_ZN9rocsparseL31bsrmm_large_blockdim_kernel_extILj8ELj8ELj2EliaaffEEvb20rocsparse_direction_T3_S2_llNS_24const_host_device_scalarIT7_EEPKT2_PKS2_PKT4_S2_PKT5_llS5_PT6_ll16rocsparse_order_21rocsparse_index_base_b
                                        ; -- End function
	.set _ZN9rocsparseL31bsrmm_large_blockdim_kernel_extILj8ELj8ELj2EliaaffEEvb20rocsparse_direction_T3_S2_llNS_24const_host_device_scalarIT7_EEPKT2_PKS2_PKT4_S2_PKT5_llS5_PT6_ll16rocsparse_order_21rocsparse_index_base_b.num_vgpr, 26
	.set _ZN9rocsparseL31bsrmm_large_blockdim_kernel_extILj8ELj8ELj2EliaaffEEvb20rocsparse_direction_T3_S2_llNS_24const_host_device_scalarIT7_EEPKT2_PKS2_PKT4_S2_PKT5_llS5_PT6_ll16rocsparse_order_21rocsparse_index_base_b.num_agpr, 0
	.set _ZN9rocsparseL31bsrmm_large_blockdim_kernel_extILj8ELj8ELj2EliaaffEEvb20rocsparse_direction_T3_S2_llNS_24const_host_device_scalarIT7_EEPKT2_PKS2_PKT4_S2_PKT5_llS5_PT6_ll16rocsparse_order_21rocsparse_index_base_b.numbered_sgpr, 42
	.set _ZN9rocsparseL31bsrmm_large_blockdim_kernel_extILj8ELj8ELj2EliaaffEEvb20rocsparse_direction_T3_S2_llNS_24const_host_device_scalarIT7_EEPKT2_PKS2_PKT4_S2_PKT5_llS5_PT6_ll16rocsparse_order_21rocsparse_index_base_b.num_named_barrier, 0
	.set _ZN9rocsparseL31bsrmm_large_blockdim_kernel_extILj8ELj8ELj2EliaaffEEvb20rocsparse_direction_T3_S2_llNS_24const_host_device_scalarIT7_EEPKT2_PKS2_PKT4_S2_PKT5_llS5_PT6_ll16rocsparse_order_21rocsparse_index_base_b.private_seg_size, 0
	.set _ZN9rocsparseL31bsrmm_large_blockdim_kernel_extILj8ELj8ELj2EliaaffEEvb20rocsparse_direction_T3_S2_llNS_24const_host_device_scalarIT7_EEPKT2_PKS2_PKT4_S2_PKT5_llS5_PT6_ll16rocsparse_order_21rocsparse_index_base_b.uses_vcc, 1
	.set _ZN9rocsparseL31bsrmm_large_blockdim_kernel_extILj8ELj8ELj2EliaaffEEvb20rocsparse_direction_T3_S2_llNS_24const_host_device_scalarIT7_EEPKT2_PKS2_PKT4_S2_PKT5_llS5_PT6_ll16rocsparse_order_21rocsparse_index_base_b.uses_flat_scratch, 0
	.set _ZN9rocsparseL31bsrmm_large_blockdim_kernel_extILj8ELj8ELj2EliaaffEEvb20rocsparse_direction_T3_S2_llNS_24const_host_device_scalarIT7_EEPKT2_PKS2_PKT4_S2_PKT5_llS5_PT6_ll16rocsparse_order_21rocsparse_index_base_b.has_dyn_sized_stack, 0
	.set _ZN9rocsparseL31bsrmm_large_blockdim_kernel_extILj8ELj8ELj2EliaaffEEvb20rocsparse_direction_T3_S2_llNS_24const_host_device_scalarIT7_EEPKT2_PKS2_PKT4_S2_PKT5_llS5_PT6_ll16rocsparse_order_21rocsparse_index_base_b.has_recursion, 0
	.set _ZN9rocsparseL31bsrmm_large_blockdim_kernel_extILj8ELj8ELj2EliaaffEEvb20rocsparse_direction_T3_S2_llNS_24const_host_device_scalarIT7_EEPKT2_PKS2_PKT4_S2_PKT5_llS5_PT6_ll16rocsparse_order_21rocsparse_index_base_b.has_indirect_call, 0
	.section	.AMDGPU.csdata,"",@progbits
; Kernel info:
; codeLenInByte = 1680
; TotalNumSgprs: 48
; NumVgprs: 26
; NumAgprs: 0
; TotalNumVgprs: 26
; ScratchSize: 0
; MemoryBound: 0
; FloatMode: 240
; IeeeMode: 1
; LDSByteSize: 768 bytes/workgroup (compile time only)
; SGPRBlocks: 5
; VGPRBlocks: 3
; NumSGPRsForWavesPerEU: 48
; NumVGPRsForWavesPerEU: 26
; AccumOffset: 28
; Occupancy: 8
; WaveLimiterHint : 1
; COMPUTE_PGM_RSRC2:SCRATCH_EN: 0
; COMPUTE_PGM_RSRC2:USER_SGPR: 2
; COMPUTE_PGM_RSRC2:TRAP_HANDLER: 0
; COMPUTE_PGM_RSRC2:TGID_X_EN: 1
; COMPUTE_PGM_RSRC2:TGID_Y_EN: 1
; COMPUTE_PGM_RSRC2:TGID_Z_EN: 0
; COMPUTE_PGM_RSRC2:TIDIG_COMP_CNT: 1
; COMPUTE_PGM_RSRC3_GFX90A:ACCUM_OFFSET: 6
; COMPUTE_PGM_RSRC3_GFX90A:TG_SPLIT: 0
	.section	.text._ZN9rocsparseL31bsrmm_large_blockdim_kernel_extILj4ELj16ELj2EliaaffEEvb20rocsparse_direction_T3_S2_llNS_24const_host_device_scalarIT7_EEPKT2_PKS2_PKT4_S2_PKT5_llS5_PT6_ll16rocsparse_order_21rocsparse_index_base_b,"axG",@progbits,_ZN9rocsparseL31bsrmm_large_blockdim_kernel_extILj4ELj16ELj2EliaaffEEvb20rocsparse_direction_T3_S2_llNS_24const_host_device_scalarIT7_EEPKT2_PKS2_PKT4_S2_PKT5_llS5_PT6_ll16rocsparse_order_21rocsparse_index_base_b,comdat
	.globl	_ZN9rocsparseL31bsrmm_large_blockdim_kernel_extILj4ELj16ELj2EliaaffEEvb20rocsparse_direction_T3_S2_llNS_24const_host_device_scalarIT7_EEPKT2_PKS2_PKT4_S2_PKT5_llS5_PT6_ll16rocsparse_order_21rocsparse_index_base_b ; -- Begin function _ZN9rocsparseL31bsrmm_large_blockdim_kernel_extILj4ELj16ELj2EliaaffEEvb20rocsparse_direction_T3_S2_llNS_24const_host_device_scalarIT7_EEPKT2_PKS2_PKT4_S2_PKT5_llS5_PT6_ll16rocsparse_order_21rocsparse_index_base_b
	.p2align	8
	.type	_ZN9rocsparseL31bsrmm_large_blockdim_kernel_extILj4ELj16ELj2EliaaffEEvb20rocsparse_direction_T3_S2_llNS_24const_host_device_scalarIT7_EEPKT2_PKS2_PKT4_S2_PKT5_llS5_PT6_ll16rocsparse_order_21rocsparse_index_base_b,@function
_ZN9rocsparseL31bsrmm_large_blockdim_kernel_extILj4ELj16ELj2EliaaffEEvb20rocsparse_direction_T3_S2_llNS_24const_host_device_scalarIT7_EEPKT2_PKS2_PKT4_S2_PKT5_llS5_PT6_ll16rocsparse_order_21rocsparse_index_base_b: ; @_ZN9rocsparseL31bsrmm_large_blockdim_kernel_extILj4ELj16ELj2EliaaffEEvb20rocsparse_direction_T3_S2_llNS_24const_host_device_scalarIT7_EEPKT2_PKS2_PKT4_S2_PKT5_llS5_PT6_ll16rocsparse_order_21rocsparse_index_base_b
; %bb.0:
	s_load_dwordx4 s[16:19], s[0:1], 0x80
	s_mov_b32 s4, s3
	s_waitcnt lgkmcnt(0)
	s_bitcmp1_b32 s18, 0
	s_load_dwordx2 s[18:19], s[0:1], 0x20
	s_load_dwordx2 s[28:29], s[0:1], 0x60
	s_cselect_b64 s[8:9], -1, 0
	s_xor_b64 s[6:7], s[8:9], -1
	s_and_b64 vcc, exec, s[8:9]
	s_cbranch_vccnz .LBB77_2
; %bb.1:
	s_waitcnt lgkmcnt(0)
	s_load_dword s18, s[18:19], 0x0
.LBB77_2:
	s_andn2_b64 vcc, exec, s[6:7]
	s_cbranch_vccnz .LBB77_4
; %bb.3:
	s_waitcnt lgkmcnt(0)
	s_load_dword s28, s[28:29], 0x0
.LBB77_4:
	s_waitcnt lgkmcnt(0)
	v_cmp_eq_f32_e64 s[6:7], s18, 0
	v_cmp_eq_f32_e64 s[8:9], s28, 1.0
	s_and_b64 s[6:7], s[6:7], s[8:9]
	s_and_b64 vcc, exec, s[6:7]
	s_cbranch_vccnz .LBB77_48
; %bb.5:
	s_load_dwordx4 s[12:15], s[0:1], 0x0
	s_load_dwordx2 s[6:7], s[0:1], 0x28
	s_mov_b64 s[34:35], 0
	s_mov_b64 s[38:39], 0
	s_waitcnt lgkmcnt(0)
	s_cmp_lt_i32 s2, s14
	s_cselect_b64 s[30:31], -1, 0
	s_cmp_ge_i32 s2, s14
	s_cbranch_scc1 .LBB77_7
; %bb.6:
	s_ashr_i32 s3, s2, 31
	s_lshl_b64 s[8:9], s[2:3], 3
	s_add_u32 s8, s6, s8
	s_addc_u32 s9, s7, s9
	s_load_dwordx2 s[8:9], s[8:9], 0x0
	s_waitcnt lgkmcnt(0)
	s_sub_u32 s38, s8, s17
	s_subb_u32 s39, s9, 0
.LBB77_7:
	s_andn2_b64 vcc, exec, s[30:31]
	s_cbranch_vccnz .LBB77_9
; %bb.8:
	s_ashr_i32 s3, s2, 31
	s_lshl_b64 s[8:9], s[2:3], 3
	s_add_u32 s6, s6, s8
	s_addc_u32 s7, s7, s9
	s_load_dwordx2 s[6:7], s[6:7], 0x8
	s_waitcnt lgkmcnt(0)
	s_sub_u32 s34, s6, s17
	s_subb_u32 s35, s7, 0
.LBB77_9:
	s_load_dwordx2 s[36:37], s[0:1], 0x68
	s_load_dword s3, s[0:1], 0x40
	v_bfe_u32 v8, v0, 10, 10
	v_lshl_add_u32 v4, s4, 5, v8
	v_and_b32_e32 v6, 0x3ff, v0
	v_mov_b64_e32 v[0:1], s[34:35]
	v_add_u32_e32 v2, 16, v4
	v_cmp_ge_i64_e32 vcc, s[38:39], v[0:1]
	s_waitcnt lgkmcnt(0)
	v_cmp_gt_i32_e64 s[4:5], s3, v6
	v_cmp_gt_i32_e64 s[6:7], s15, v4
	;; [unrolled: 1-line block ×3, first 2 shown]
	s_cbranch_vccnz .LBB77_27
; %bb.10:
	s_load_dwordx4 s[20:23], s[0:1], 0x30
	s_load_dwordx4 s[24:27], s[0:1], 0x48
	v_mov_b32_e32 v0, 0x200
	v_cmp_gt_i32_e32 vcc, s3, v8
	v_lshl_add_u32 v16, v8, 2, v0
	v_mul_lo_u32 v0, s3, v8
	v_mov_b32_e32 v1, 0
	s_and_b64 s[40:41], s[4:5], vcc
	v_mov_b32_e32 v7, v1
	s_waitcnt lgkmcnt(0)
	v_lshl_add_u64 v[10:11], s[22:23], 0, v[0:1]
	v_mul_lo_u32 v0, s3, v6
	s_bitcmp1_b32 s12, 0
	v_lshl_add_u64 v[12:13], v[10:11], 0, v[6:7]
	v_mov_b32_e32 v9, v1
	v_lshl_add_u64 v[10:11], s[22:23], 0, v[0:1]
	v_ashrrev_i32_e32 v5, 31, v4
	s_cselect_b64 s[10:11], -1, 0
	v_lshlrev_b32_e32 v18, 4, v8
	s_cmp_eq_u32 s13, 0
	v_lshl_add_u64 v[14:15], v[10:11], 0, v[8:9]
	v_mul_lo_u32 v0, s27, v4
	v_mul_lo_u32 v3, s26, v5
	v_mad_u64_u32 v[8:9], s[12:13], s26, v4, 0
	v_add3_u32 v9, v9, v3, v0
	v_ashrrev_i32_e32 v3, 31, v2
	v_lshlrev_b32_e32 v17, 2, v6
	v_lshlrev_b32_e32 v21, 4, v6
	v_mul_lo_u32 v0, s27, v2
	v_mul_lo_u32 v7, s26, v3
	v_mad_u64_u32 v[10:11], s[12:13], s26, v2, 0
	s_cselect_b64 vcc, -1, 0
	s_mul_i32 s14, s3, s3
	v_add3_u32 v11, v11, v7, v0
	v_cndmask_b32_e32 v13, v13, v15, vcc
	v_cndmask_b32_e32 v12, v12, v14, vcc
	v_add_u32_e32 v7, 0x200, v21
	v_add_u32_e32 v19, 0x100, v18
	v_mov_b32_e32 v0, v1
	v_add_u32_e32 v20, v17, v18
	v_add_u32_e32 v21, v16, v21
	s_branch .LBB77_13
.LBB77_11:                              ;   in Loop: Header=BB77_13 Depth=1
	s_or_b64 exec, exec, s[22:23]
.LBB77_12:                              ;   in Loop: Header=BB77_13 Depth=1
	s_or_b64 exec, exec, s[12:13]
	s_add_u32 s38, s38, 1
	s_addc_u32 s39, s39, 0
	v_mov_b64_e32 v[14:15], s[34:35]
	v_cmp_ge_i64_e32 vcc, s[38:39], v[14:15]
	; wave barrier
	s_cbranch_vccnz .LBB77_28
.LBB77_13:                              ; =>This Loop Header: Depth=1
                                        ;     Child Loop BB77_23 Depth 2
                                        ;     Child Loop BB77_26 Depth 2
	s_and_saveexec_b64 s[12:13], s[4:5]
	s_cbranch_execz .LBB77_18
; %bb.14:                               ;   in Loop: Header=BB77_13 Depth=1
	s_lshl_b64 s[22:23], s[38:39], 2
	s_add_u32 s22, s20, s22
	s_addc_u32 s23, s21, s23
	s_load_dword s19, s[22:23], 0x0
	v_mov_b64_e32 v[14:15], s[24:25]
	s_waitcnt lgkmcnt(0)
	s_sub_i32 s19, s19, s17
	s_mul_i32 s19, s19, s3
	v_add_u32_e32 v16, s19, v6
	v_ashrrev_i32_e32 v17, 31, v16
	v_mul_lo_u32 v22, s27, v16
	v_mad_u64_u32 v[14:15], s[22:23], s26, v16, v[14:15]
	v_mul_lo_u32 v23, s26, v17
	v_add3_u32 v15, v22, v15, v23
	v_lshl_add_u64 v[16:17], s[24:25], 0, v[16:17]
	s_and_saveexec_b64 s[22:23], s[6:7]
	s_cbranch_execz .LBB77_16
; %bb.15:                               ;   in Loop: Header=BB77_13 Depth=1
	v_lshl_add_u64 v[22:23], v[14:15], 0, v[4:5]
	v_lshl_add_u64 v[24:25], v[16:17], 0, v[8:9]
	v_cndmask_b32_e64 v23, v23, v25, s[10:11]
	v_cndmask_b32_e64 v22, v22, v24, s[10:11]
	global_load_sbyte v22, v[22:23], off
	s_waitcnt vmcnt(0)
	v_cvt_f32_i32_e32 v22, v22
	ds_write_b32 v20, v22
.LBB77_16:                              ;   in Loop: Header=BB77_13 Depth=1
	s_or_b64 exec, exec, s[22:23]
	s_and_b64 exec, exec, s[8:9]
	s_cbranch_execz .LBB77_18
; %bb.17:                               ;   in Loop: Header=BB77_13 Depth=1
	v_lshl_add_u64 v[16:17], v[16:17], 0, v[10:11]
	v_lshl_add_u64 v[14:15], v[14:15], 0, v[2:3]
	v_cndmask_b32_e64 v15, v15, v17, s[10:11]
	v_cndmask_b32_e64 v14, v14, v16, s[10:11]
	global_load_sbyte v14, v[14:15], off
	s_waitcnt vmcnt(0)
	v_cvt_f32_i32_e32 v14, v14
	ds_write_b32 v20, v14 offset:256
.LBB77_18:                              ;   in Loop: Header=BB77_13 Depth=1
	s_or_b64 exec, exec, s[12:13]
	s_and_saveexec_b64 s[12:13], s[40:41]
	s_cbranch_execz .LBB77_20
; %bb.19:                               ;   in Loop: Header=BB77_13 Depth=1
	v_mov_b32_e32 v14, s14
	v_mad_u64_u32 v[14:15], s[22:23], s38, v14, v[12:13]
	s_mul_i32 s19, s39, s14
	v_add_u32_e32 v15, s19, v15
	global_load_sbyte v14, v[14:15], off
	s_waitcnt vmcnt(0)
	v_cvt_f32_i32_e32 v14, v14
	ds_write_b32 v21, v14
.LBB77_20:                              ;   in Loop: Header=BB77_13 Depth=1
	s_or_b64 exec, exec, s[12:13]
	s_waitcnt lgkmcnt(0)
	; wave barrier
	s_and_saveexec_b64 s[12:13], s[4:5]
	s_cbranch_execz .LBB77_12
; %bb.21:                               ;   in Loop: Header=BB77_13 Depth=1
	s_and_saveexec_b64 s[22:23], s[6:7]
	s_cbranch_execz .LBB77_24
; %bb.22:                               ;   in Loop: Header=BB77_13 Depth=1
	v_mov_b32_e32 v14, v7
	v_mov_b32_e32 v15, v18
	s_mov_b32 s19, s3
.LBB77_23:                              ;   Parent Loop BB77_13 Depth=1
                                        ; =>  This Inner Loop Header: Depth=2
	ds_read_b32 v16, v14
	ds_read_b32 v17, v15
	s_add_i32 s19, s19, -1
	v_add_u32_e32 v15, 4, v15
	v_add_u32_e32 v14, 4, v14
	s_cmp_lg_u32 s19, 0
	s_waitcnt lgkmcnt(0)
	v_fma_f32 v0, v16, v17, v0
	s_cbranch_scc1 .LBB77_23
.LBB77_24:                              ;   in Loop: Header=BB77_13 Depth=1
	s_or_b64 exec, exec, s[22:23]
	s_and_saveexec_b64 s[22:23], s[8:9]
	s_cbranch_execz .LBB77_11
; %bb.25:                               ;   in Loop: Header=BB77_13 Depth=1
	v_mov_b32_e32 v14, v7
	s_mov_b32 s19, s3
	v_mov_b32_e32 v15, v19
.LBB77_26:                              ;   Parent Loop BB77_13 Depth=1
                                        ; =>  This Inner Loop Header: Depth=2
	ds_read_b32 v16, v14
	ds_read_b32 v17, v15
	s_add_i32 s19, s19, -1
	v_add_u32_e32 v15, 4, v15
	v_add_u32_e32 v14, 4, v14
	s_cmp_lg_u32 s19, 0
	s_waitcnt lgkmcnt(0)
	v_fma_f32 v1, v16, v17, v1
	s_cbranch_scc1 .LBB77_26
	s_branch .LBB77_11
.LBB77_27:
	v_mov_b32_e32 v0, 0
	v_mov_b32_e32 v1, v0
.LBB77_28:
	s_and_b64 s[4:5], s[30:31], s[4:5]
	s_and_saveexec_b64 s[6:7], s[4:5]
	s_cbranch_execz .LBB77_48
; %bb.29:
	s_mul_i32 s2, s3, s2
	v_add_u32_e32 v6, s2, v6
	s_load_dwordx2 s[2:3], s[0:1], 0x70
	v_ashrrev_i32_e32 v7, 31, v6
	s_cmp_lg_u32 s16, 1
	v_cmp_neq_f32_e64 s[0:1], s28, 0
	s_cselect_b64 s[4:5], -1, 0
	s_waitcnt lgkmcnt(0)
	v_mul_lo_u32 v3, s2, v7
	v_mul_lo_u32 v5, s3, v6
	v_mad_u64_u32 v[8:9], s[6:7], s2, v6, 0
	v_add3_u32 v9, v9, v3, v5
	v_lshl_add_u64 v[8:9], v[8:9], 2, s[36:37]
	v_lshl_add_u64 v[6:7], v[6:7], 2, s[36:37]
	v_cmp_gt_i32_e32 vcc, s15, v4
	s_and_saveexec_b64 s[6:7], vcc
	s_cbranch_execz .LBB77_41
; %bb.30:
	s_and_b64 vcc, exec, s[0:1]
	v_ashrrev_i32_e32 v5, 31, v4
	s_mov_b64 s[8:9], -1
	s_cbranch_vccz .LBB77_36
; %bb.31:
	s_and_b64 vcc, exec, s[4:5]
	s_cbranch_vccz .LBB77_33
; %bb.32:
	v_lshl_add_u64 v[10:11], v[4:5], 2, v[8:9]
	global_load_dword v3, v[10:11], off
	v_mul_f32_e32 v12, s18, v0
	s_mov_b64 s[8:9], 0
	s_waitcnt vmcnt(0)
	v_fmac_f32_e32 v12, s28, v3
	global_store_dword v[10:11], v12, off
.LBB77_33:
	s_andn2_b64 vcc, exec, s[8:9]
	s_cbranch_vccnz .LBB77_35
; %bb.34:
	v_mul_lo_u32 v3, s3, v4
	v_mul_lo_u32 v12, s2, v5
	v_mad_u64_u32 v[10:11], s[8:9], s2, v4, 0
	v_add3_u32 v11, v11, v12, v3
	v_lshl_add_u64 v[10:11], v[10:11], 2, v[6:7]
	global_load_dword v3, v[10:11], off
	v_mul_f32_e32 v12, s18, v0
	s_waitcnt vmcnt(0)
	v_fmac_f32_e32 v12, s28, v3
	global_store_dword v[10:11], v12, off
.LBB77_35:
	s_mov_b64 s[8:9], 0
.LBB77_36:
	s_andn2_b64 vcc, exec, s[8:9]
	s_cbranch_vccnz .LBB77_41
; %bb.37:
	v_mul_f32_e32 v0, s18, v0
	s_mov_b64 s[8:9], -1
	s_and_b64 vcc, exec, s[4:5]
	s_cbranch_vccz .LBB77_39
; %bb.38:
	v_lshl_add_u64 v[10:11], v[4:5], 2, v[8:9]
	global_store_dword v[10:11], v0, off
	s_mov_b64 s[8:9], 0
.LBB77_39:
	s_andn2_b64 vcc, exec, s[8:9]
	s_cbranch_vccnz .LBB77_41
; %bb.40:
	v_mul_lo_u32 v3, s3, v4
	v_mul_lo_u32 v10, s2, v5
	v_mad_u64_u32 v[4:5], s[8:9], s2, v4, 0
	v_add3_u32 v5, v5, v10, v3
	v_lshl_add_u64 v[4:5], v[4:5], 2, v[6:7]
	global_store_dword v[4:5], v0, off
.LBB77_41:
	s_or_b64 exec, exec, s[6:7]
	v_cmp_gt_i32_e32 vcc, s15, v2
	s_and_b64 exec, exec, vcc
	s_cbranch_execz .LBB77_48
; %bb.42:
	v_cndmask_b32_e64 v0, 0, 1, s[4:5]
	s_andn2_b64 vcc, exec, s[0:1]
	v_ashrrev_i32_e32 v3, 31, v2
	v_cmp_ne_u32_e64 s[0:1], 1, v0
	s_cbranch_vccnz .LBB77_49
; %bb.43:
	s_and_b64 vcc, exec, s[0:1]
	s_mov_b64 s[4:5], -1
	s_cbranch_vccnz .LBB77_45
; %bb.44:
	v_lshl_add_u64 v[4:5], v[2:3], 2, v[8:9]
	global_load_dword v0, v[4:5], off
	v_mul_f32_e32 v10, s18, v1
	s_mov_b64 s[4:5], 0
	s_waitcnt vmcnt(0)
	v_fmac_f32_e32 v10, s28, v0
	global_store_dword v[4:5], v10, off
.LBB77_45:
	s_andn2_b64 vcc, exec, s[4:5]
	s_cbranch_vccnz .LBB77_47
; %bb.46:
	v_mul_lo_u32 v0, s3, v2
	v_mul_lo_u32 v10, s2, v3
	v_mad_u64_u32 v[4:5], s[4:5], s2, v2, 0
	v_add3_u32 v5, v5, v10, v0
	v_lshl_add_u64 v[4:5], v[4:5], 2, v[6:7]
	global_load_dword v0, v[4:5], off
	v_mul_f32_e32 v10, s18, v1
	s_waitcnt vmcnt(0)
	v_fmac_f32_e32 v10, s28, v0
	global_store_dword v[4:5], v10, off
.LBB77_47:
	s_cbranch_execz .LBB77_50
.LBB77_48:
	s_endpgm
.LBB77_49:
.LBB77_50:
	v_mul_f32_e32 v0, s18, v1
	s_and_b64 vcc, exec, s[0:1]
	s_mov_b64 s[0:1], -1
	s_cbranch_vccnz .LBB77_52
; %bb.51:
	v_lshl_add_u64 v[4:5], v[2:3], 2, v[8:9]
	s_mov_b64 s[0:1], 0
	global_store_dword v[4:5], v0, off
.LBB77_52:
	s_andn2_b64 vcc, exec, s[0:1]
	s_cbranch_vccnz .LBB77_48
; %bb.53:
	v_mul_lo_u32 v1, s3, v2
	v_mul_lo_u32 v4, s2, v3
	v_mad_u64_u32 v[2:3], s[0:1], s2, v2, 0
	v_add3_u32 v3, v3, v4, v1
	v_lshl_add_u64 v[2:3], v[2:3], 2, v[6:7]
	global_store_dword v[2:3], v0, off
	s_endpgm
	.section	.rodata,"a",@progbits
	.p2align	6, 0x0
	.amdhsa_kernel _ZN9rocsparseL31bsrmm_large_blockdim_kernel_extILj4ELj16ELj2EliaaffEEvb20rocsparse_direction_T3_S2_llNS_24const_host_device_scalarIT7_EEPKT2_PKS2_PKT4_S2_PKT5_llS5_PT6_ll16rocsparse_order_21rocsparse_index_base_b
		.amdhsa_group_segment_fixed_size 576
		.amdhsa_private_segment_fixed_size 0
		.amdhsa_kernarg_size 140
		.amdhsa_user_sgpr_count 2
		.amdhsa_user_sgpr_dispatch_ptr 0
		.amdhsa_user_sgpr_queue_ptr 0
		.amdhsa_user_sgpr_kernarg_segment_ptr 1
		.amdhsa_user_sgpr_dispatch_id 0
		.amdhsa_user_sgpr_kernarg_preload_length 0
		.amdhsa_user_sgpr_kernarg_preload_offset 0
		.amdhsa_user_sgpr_private_segment_size 0
		.amdhsa_uses_dynamic_stack 0
		.amdhsa_enable_private_segment 0
		.amdhsa_system_sgpr_workgroup_id_x 1
		.amdhsa_system_sgpr_workgroup_id_y 1
		.amdhsa_system_sgpr_workgroup_id_z 0
		.amdhsa_system_sgpr_workgroup_info 0
		.amdhsa_system_vgpr_workitem_id 1
		.amdhsa_next_free_vgpr 26
		.amdhsa_next_free_sgpr 42
		.amdhsa_accum_offset 28
		.amdhsa_reserve_vcc 1
		.amdhsa_float_round_mode_32 0
		.amdhsa_float_round_mode_16_64 0
		.amdhsa_float_denorm_mode_32 3
		.amdhsa_float_denorm_mode_16_64 3
		.amdhsa_dx10_clamp 1
		.amdhsa_ieee_mode 1
		.amdhsa_fp16_overflow 0
		.amdhsa_tg_split 0
		.amdhsa_exception_fp_ieee_invalid_op 0
		.amdhsa_exception_fp_denorm_src 0
		.amdhsa_exception_fp_ieee_div_zero 0
		.amdhsa_exception_fp_ieee_overflow 0
		.amdhsa_exception_fp_ieee_underflow 0
		.amdhsa_exception_fp_ieee_inexact 0
		.amdhsa_exception_int_div_zero 0
	.end_amdhsa_kernel
	.section	.text._ZN9rocsparseL31bsrmm_large_blockdim_kernel_extILj4ELj16ELj2EliaaffEEvb20rocsparse_direction_T3_S2_llNS_24const_host_device_scalarIT7_EEPKT2_PKS2_PKT4_S2_PKT5_llS5_PT6_ll16rocsparse_order_21rocsparse_index_base_b,"axG",@progbits,_ZN9rocsparseL31bsrmm_large_blockdim_kernel_extILj4ELj16ELj2EliaaffEEvb20rocsparse_direction_T3_S2_llNS_24const_host_device_scalarIT7_EEPKT2_PKS2_PKT4_S2_PKT5_llS5_PT6_ll16rocsparse_order_21rocsparse_index_base_b,comdat
.Lfunc_end77:
	.size	_ZN9rocsparseL31bsrmm_large_blockdim_kernel_extILj4ELj16ELj2EliaaffEEvb20rocsparse_direction_T3_S2_llNS_24const_host_device_scalarIT7_EEPKT2_PKS2_PKT4_S2_PKT5_llS5_PT6_ll16rocsparse_order_21rocsparse_index_base_b, .Lfunc_end77-_ZN9rocsparseL31bsrmm_large_blockdim_kernel_extILj4ELj16ELj2EliaaffEEvb20rocsparse_direction_T3_S2_llNS_24const_host_device_scalarIT7_EEPKT2_PKS2_PKT4_S2_PKT5_llS5_PT6_ll16rocsparse_order_21rocsparse_index_base_b
                                        ; -- End function
	.set _ZN9rocsparseL31bsrmm_large_blockdim_kernel_extILj4ELj16ELj2EliaaffEEvb20rocsparse_direction_T3_S2_llNS_24const_host_device_scalarIT7_EEPKT2_PKS2_PKT4_S2_PKT5_llS5_PT6_ll16rocsparse_order_21rocsparse_index_base_b.num_vgpr, 26
	.set _ZN9rocsparseL31bsrmm_large_blockdim_kernel_extILj4ELj16ELj2EliaaffEEvb20rocsparse_direction_T3_S2_llNS_24const_host_device_scalarIT7_EEPKT2_PKS2_PKT4_S2_PKT5_llS5_PT6_ll16rocsparse_order_21rocsparse_index_base_b.num_agpr, 0
	.set _ZN9rocsparseL31bsrmm_large_blockdim_kernel_extILj4ELj16ELj2EliaaffEEvb20rocsparse_direction_T3_S2_llNS_24const_host_device_scalarIT7_EEPKT2_PKS2_PKT4_S2_PKT5_llS5_PT6_ll16rocsparse_order_21rocsparse_index_base_b.numbered_sgpr, 42
	.set _ZN9rocsparseL31bsrmm_large_blockdim_kernel_extILj4ELj16ELj2EliaaffEEvb20rocsparse_direction_T3_S2_llNS_24const_host_device_scalarIT7_EEPKT2_PKS2_PKT4_S2_PKT5_llS5_PT6_ll16rocsparse_order_21rocsparse_index_base_b.num_named_barrier, 0
	.set _ZN9rocsparseL31bsrmm_large_blockdim_kernel_extILj4ELj16ELj2EliaaffEEvb20rocsparse_direction_T3_S2_llNS_24const_host_device_scalarIT7_EEPKT2_PKS2_PKT4_S2_PKT5_llS5_PT6_ll16rocsparse_order_21rocsparse_index_base_b.private_seg_size, 0
	.set _ZN9rocsparseL31bsrmm_large_blockdim_kernel_extILj4ELj16ELj2EliaaffEEvb20rocsparse_direction_T3_S2_llNS_24const_host_device_scalarIT7_EEPKT2_PKS2_PKT4_S2_PKT5_llS5_PT6_ll16rocsparse_order_21rocsparse_index_base_b.uses_vcc, 1
	.set _ZN9rocsparseL31bsrmm_large_blockdim_kernel_extILj4ELj16ELj2EliaaffEEvb20rocsparse_direction_T3_S2_llNS_24const_host_device_scalarIT7_EEPKT2_PKS2_PKT4_S2_PKT5_llS5_PT6_ll16rocsparse_order_21rocsparse_index_base_b.uses_flat_scratch, 0
	.set _ZN9rocsparseL31bsrmm_large_blockdim_kernel_extILj4ELj16ELj2EliaaffEEvb20rocsparse_direction_T3_S2_llNS_24const_host_device_scalarIT7_EEPKT2_PKS2_PKT4_S2_PKT5_llS5_PT6_ll16rocsparse_order_21rocsparse_index_base_b.has_dyn_sized_stack, 0
	.set _ZN9rocsparseL31bsrmm_large_blockdim_kernel_extILj4ELj16ELj2EliaaffEEvb20rocsparse_direction_T3_S2_llNS_24const_host_device_scalarIT7_EEPKT2_PKS2_PKT4_S2_PKT5_llS5_PT6_ll16rocsparse_order_21rocsparse_index_base_b.has_recursion, 0
	.set _ZN9rocsparseL31bsrmm_large_blockdim_kernel_extILj4ELj16ELj2EliaaffEEvb20rocsparse_direction_T3_S2_llNS_24const_host_device_scalarIT7_EEPKT2_PKS2_PKT4_S2_PKT5_llS5_PT6_ll16rocsparse_order_21rocsparse_index_base_b.has_indirect_call, 0
	.section	.AMDGPU.csdata,"",@progbits
; Kernel info:
; codeLenInByte = 1680
; TotalNumSgprs: 48
; NumVgprs: 26
; NumAgprs: 0
; TotalNumVgprs: 26
; ScratchSize: 0
; MemoryBound: 0
; FloatMode: 240
; IeeeMode: 1
; LDSByteSize: 576 bytes/workgroup (compile time only)
; SGPRBlocks: 5
; VGPRBlocks: 3
; NumSGPRsForWavesPerEU: 48
; NumVGPRsForWavesPerEU: 26
; AccumOffset: 28
; Occupancy: 8
; WaveLimiterHint : 1
; COMPUTE_PGM_RSRC2:SCRATCH_EN: 0
; COMPUTE_PGM_RSRC2:USER_SGPR: 2
; COMPUTE_PGM_RSRC2:TRAP_HANDLER: 0
; COMPUTE_PGM_RSRC2:TGID_X_EN: 1
; COMPUTE_PGM_RSRC2:TGID_Y_EN: 1
; COMPUTE_PGM_RSRC2:TGID_Z_EN: 0
; COMPUTE_PGM_RSRC2:TIDIG_COMP_CNT: 1
; COMPUTE_PGM_RSRC3_GFX90A:ACCUM_OFFSET: 6
; COMPUTE_PGM_RSRC3_GFX90A:TG_SPLIT: 0
	.section	.text._ZN9rocsparseL31bsrmm_large_blockdim_kernel_extILj16ELj16ELj2EliaaffEEvb20rocsparse_direction_T3_S2_llNS_24const_host_device_scalarIT7_EEPKT2_PKS2_PKT4_S2_PKT5_llS5_PT6_ll16rocsparse_order_21rocsparse_index_base_b,"axG",@progbits,_ZN9rocsparseL31bsrmm_large_blockdim_kernel_extILj16ELj16ELj2EliaaffEEvb20rocsparse_direction_T3_S2_llNS_24const_host_device_scalarIT7_EEPKT2_PKS2_PKT4_S2_PKT5_llS5_PT6_ll16rocsparse_order_21rocsparse_index_base_b,comdat
	.globl	_ZN9rocsparseL31bsrmm_large_blockdim_kernel_extILj16ELj16ELj2EliaaffEEvb20rocsparse_direction_T3_S2_llNS_24const_host_device_scalarIT7_EEPKT2_PKS2_PKT4_S2_PKT5_llS5_PT6_ll16rocsparse_order_21rocsparse_index_base_b ; -- Begin function _ZN9rocsparseL31bsrmm_large_blockdim_kernel_extILj16ELj16ELj2EliaaffEEvb20rocsparse_direction_T3_S2_llNS_24const_host_device_scalarIT7_EEPKT2_PKS2_PKT4_S2_PKT5_llS5_PT6_ll16rocsparse_order_21rocsparse_index_base_b
	.p2align	8
	.type	_ZN9rocsparseL31bsrmm_large_blockdim_kernel_extILj16ELj16ELj2EliaaffEEvb20rocsparse_direction_T3_S2_llNS_24const_host_device_scalarIT7_EEPKT2_PKS2_PKT4_S2_PKT5_llS5_PT6_ll16rocsparse_order_21rocsparse_index_base_b,@function
_ZN9rocsparseL31bsrmm_large_blockdim_kernel_extILj16ELj16ELj2EliaaffEEvb20rocsparse_direction_T3_S2_llNS_24const_host_device_scalarIT7_EEPKT2_PKS2_PKT4_S2_PKT5_llS5_PT6_ll16rocsparse_order_21rocsparse_index_base_b: ; @_ZN9rocsparseL31bsrmm_large_blockdim_kernel_extILj16ELj16ELj2EliaaffEEvb20rocsparse_direction_T3_S2_llNS_24const_host_device_scalarIT7_EEPKT2_PKS2_PKT4_S2_PKT5_llS5_PT6_ll16rocsparse_order_21rocsparse_index_base_b
; %bb.0:
	s_load_dwordx4 s[16:19], s[0:1], 0x80
	s_mov_b32 s4, s3
	s_waitcnt lgkmcnt(0)
	s_bitcmp1_b32 s18, 0
	s_load_dwordx2 s[18:19], s[0:1], 0x20
	s_load_dwordx2 s[28:29], s[0:1], 0x60
	s_cselect_b64 s[8:9], -1, 0
	s_xor_b64 s[6:7], s[8:9], -1
	s_and_b64 vcc, exec, s[8:9]
	s_cbranch_vccnz .LBB78_2
; %bb.1:
	s_waitcnt lgkmcnt(0)
	s_load_dword s18, s[18:19], 0x0
.LBB78_2:
	s_andn2_b64 vcc, exec, s[6:7]
	s_cbranch_vccnz .LBB78_4
; %bb.3:
	s_waitcnt lgkmcnt(0)
	s_load_dword s28, s[28:29], 0x0
.LBB78_4:
	s_waitcnt lgkmcnt(0)
	v_cmp_eq_f32_e64 s[6:7], s18, 0
	v_cmp_eq_f32_e64 s[8:9], s28, 1.0
	s_and_b64 s[6:7], s[6:7], s[8:9]
	s_and_b64 vcc, exec, s[6:7]
	s_cbranch_vccnz .LBB78_48
; %bb.5:
	s_load_dwordx4 s[12:15], s[0:1], 0x0
	s_load_dwordx2 s[6:7], s[0:1], 0x28
	s_mov_b64 s[34:35], 0
	s_mov_b64 s[38:39], 0
	s_waitcnt lgkmcnt(0)
	s_cmp_lt_i32 s2, s14
	s_cselect_b64 s[30:31], -1, 0
	s_cmp_ge_i32 s2, s14
	s_cbranch_scc1 .LBB78_7
; %bb.6:
	s_ashr_i32 s3, s2, 31
	s_lshl_b64 s[8:9], s[2:3], 3
	s_add_u32 s8, s6, s8
	s_addc_u32 s9, s7, s9
	s_load_dwordx2 s[8:9], s[8:9], 0x0
	s_waitcnt lgkmcnt(0)
	s_sub_u32 s38, s8, s17
	s_subb_u32 s39, s9, 0
.LBB78_7:
	s_andn2_b64 vcc, exec, s[30:31]
	s_cbranch_vccnz .LBB78_9
; %bb.8:
	s_ashr_i32 s3, s2, 31
	s_lshl_b64 s[8:9], s[2:3], 3
	s_add_u32 s6, s6, s8
	s_addc_u32 s7, s7, s9
	s_load_dwordx2 s[6:7], s[6:7], 0x8
	s_waitcnt lgkmcnt(0)
	s_sub_u32 s34, s6, s17
	s_subb_u32 s35, s7, 0
.LBB78_9:
	s_load_dwordx2 s[36:37], s[0:1], 0x68
	s_load_dword s3, s[0:1], 0x40
	v_bfe_u32 v8, v0, 10, 10
	v_lshl_add_u32 v4, s4, 5, v8
	v_and_b32_e32 v6, 0x3ff, v0
	v_mov_b64_e32 v[0:1], s[34:35]
	v_add_u32_e32 v2, 16, v4
	v_cmp_ge_i64_e32 vcc, s[38:39], v[0:1]
	s_waitcnt lgkmcnt(0)
	v_cmp_gt_i32_e64 s[4:5], s3, v6
	v_cmp_gt_i32_e64 s[6:7], s15, v4
	;; [unrolled: 1-line block ×3, first 2 shown]
	s_cbranch_vccnz .LBB78_27
; %bb.10:
	s_load_dwordx4 s[20:23], s[0:1], 0x30
	s_load_dwordx4 s[24:27], s[0:1], 0x48
	v_mov_b32_e32 v0, 0x800
	v_cmp_gt_i32_e32 vcc, s3, v8
	v_lshl_add_u32 v16, v8, 2, v0
	v_mul_lo_u32 v0, s3, v8
	v_mov_b32_e32 v1, 0
	s_and_b64 s[40:41], s[4:5], vcc
	v_mov_b32_e32 v7, v1
	s_waitcnt lgkmcnt(0)
	v_lshl_add_u64 v[10:11], s[22:23], 0, v[0:1]
	v_mul_lo_u32 v0, s3, v6
	s_bitcmp1_b32 s12, 0
	v_lshl_add_u64 v[12:13], v[10:11], 0, v[6:7]
	v_mov_b32_e32 v9, v1
	v_lshl_add_u64 v[10:11], s[22:23], 0, v[0:1]
	v_ashrrev_i32_e32 v5, 31, v4
	s_cselect_b64 s[10:11], -1, 0
	v_lshlrev_b32_e32 v18, 6, v8
	s_cmp_eq_u32 s13, 0
	v_lshl_add_u64 v[14:15], v[10:11], 0, v[8:9]
	v_mul_lo_u32 v0, s27, v4
	v_mul_lo_u32 v3, s26, v5
	v_mad_u64_u32 v[8:9], s[12:13], s26, v4, 0
	v_add3_u32 v9, v9, v3, v0
	v_ashrrev_i32_e32 v3, 31, v2
	v_lshlrev_b32_e32 v17, 2, v6
	v_lshlrev_b32_e32 v21, 6, v6
	v_mul_lo_u32 v0, s27, v2
	v_mul_lo_u32 v7, s26, v3
	v_mad_u64_u32 v[10:11], s[12:13], s26, v2, 0
	s_cselect_b64 vcc, -1, 0
	s_mul_i32 s14, s3, s3
	v_add3_u32 v11, v11, v7, v0
	v_cndmask_b32_e32 v13, v13, v15, vcc
	v_cndmask_b32_e32 v12, v12, v14, vcc
	v_add_u32_e32 v7, 0x800, v21
	v_add_u32_e32 v19, 0x400, v18
	v_mov_b32_e32 v0, v1
	v_add_u32_e32 v20, v17, v18
	v_add_u32_e32 v21, v16, v21
	s_branch .LBB78_13
.LBB78_11:                              ;   in Loop: Header=BB78_13 Depth=1
	s_or_b64 exec, exec, s[22:23]
.LBB78_12:                              ;   in Loop: Header=BB78_13 Depth=1
	s_or_b64 exec, exec, s[12:13]
	s_add_u32 s38, s38, 1
	s_addc_u32 s39, s39, 0
	v_mov_b64_e32 v[14:15], s[34:35]
	v_cmp_ge_i64_e32 vcc, s[38:39], v[14:15]
	s_barrier
	s_cbranch_vccnz .LBB78_28
.LBB78_13:                              ; =>This Loop Header: Depth=1
                                        ;     Child Loop BB78_23 Depth 2
                                        ;     Child Loop BB78_26 Depth 2
	s_and_saveexec_b64 s[12:13], s[4:5]
	s_cbranch_execz .LBB78_18
; %bb.14:                               ;   in Loop: Header=BB78_13 Depth=1
	s_lshl_b64 s[22:23], s[38:39], 2
	s_add_u32 s22, s20, s22
	s_addc_u32 s23, s21, s23
	s_load_dword s19, s[22:23], 0x0
	v_mov_b64_e32 v[14:15], s[24:25]
	s_waitcnt lgkmcnt(0)
	s_sub_i32 s19, s19, s17
	s_mul_i32 s19, s19, s3
	v_add_u32_e32 v16, s19, v6
	v_ashrrev_i32_e32 v17, 31, v16
	v_mul_lo_u32 v22, s27, v16
	v_mad_u64_u32 v[14:15], s[22:23], s26, v16, v[14:15]
	v_mul_lo_u32 v23, s26, v17
	v_add3_u32 v15, v22, v15, v23
	v_lshl_add_u64 v[16:17], s[24:25], 0, v[16:17]
	s_and_saveexec_b64 s[22:23], s[6:7]
	s_cbranch_execz .LBB78_16
; %bb.15:                               ;   in Loop: Header=BB78_13 Depth=1
	v_lshl_add_u64 v[22:23], v[14:15], 0, v[4:5]
	v_lshl_add_u64 v[24:25], v[16:17], 0, v[8:9]
	v_cndmask_b32_e64 v23, v23, v25, s[10:11]
	v_cndmask_b32_e64 v22, v22, v24, s[10:11]
	global_load_sbyte v22, v[22:23], off
	s_waitcnt vmcnt(0)
	v_cvt_f32_i32_e32 v22, v22
	ds_write_b32 v20, v22
.LBB78_16:                              ;   in Loop: Header=BB78_13 Depth=1
	s_or_b64 exec, exec, s[22:23]
	s_and_b64 exec, exec, s[8:9]
	s_cbranch_execz .LBB78_18
; %bb.17:                               ;   in Loop: Header=BB78_13 Depth=1
	v_lshl_add_u64 v[16:17], v[16:17], 0, v[10:11]
	v_lshl_add_u64 v[14:15], v[14:15], 0, v[2:3]
	v_cndmask_b32_e64 v15, v15, v17, s[10:11]
	v_cndmask_b32_e64 v14, v14, v16, s[10:11]
	global_load_sbyte v14, v[14:15], off
	s_waitcnt vmcnt(0)
	v_cvt_f32_i32_e32 v14, v14
	ds_write_b32 v20, v14 offset:1024
.LBB78_18:                              ;   in Loop: Header=BB78_13 Depth=1
	s_or_b64 exec, exec, s[12:13]
	s_and_saveexec_b64 s[12:13], s[40:41]
	s_cbranch_execz .LBB78_20
; %bb.19:                               ;   in Loop: Header=BB78_13 Depth=1
	v_mov_b32_e32 v14, s14
	v_mad_u64_u32 v[14:15], s[22:23], s38, v14, v[12:13]
	s_mul_i32 s19, s39, s14
	v_add_u32_e32 v15, s19, v15
	global_load_sbyte v14, v[14:15], off
	s_waitcnt vmcnt(0)
	v_cvt_f32_i32_e32 v14, v14
	ds_write_b32 v21, v14
.LBB78_20:                              ;   in Loop: Header=BB78_13 Depth=1
	s_or_b64 exec, exec, s[12:13]
	s_waitcnt lgkmcnt(0)
	s_barrier
	s_and_saveexec_b64 s[12:13], s[4:5]
	s_cbranch_execz .LBB78_12
; %bb.21:                               ;   in Loop: Header=BB78_13 Depth=1
	s_and_saveexec_b64 s[22:23], s[6:7]
	s_cbranch_execz .LBB78_24
; %bb.22:                               ;   in Loop: Header=BB78_13 Depth=1
	v_mov_b32_e32 v14, v7
	v_mov_b32_e32 v15, v18
	s_mov_b32 s19, s3
.LBB78_23:                              ;   Parent Loop BB78_13 Depth=1
                                        ; =>  This Inner Loop Header: Depth=2
	ds_read_b32 v16, v14
	ds_read_b32 v17, v15
	s_add_i32 s19, s19, -1
	v_add_u32_e32 v15, 4, v15
	v_add_u32_e32 v14, 4, v14
	s_cmp_lg_u32 s19, 0
	s_waitcnt lgkmcnt(0)
	v_fma_f32 v0, v16, v17, v0
	s_cbranch_scc1 .LBB78_23
.LBB78_24:                              ;   in Loop: Header=BB78_13 Depth=1
	s_or_b64 exec, exec, s[22:23]
	s_and_saveexec_b64 s[22:23], s[8:9]
	s_cbranch_execz .LBB78_11
; %bb.25:                               ;   in Loop: Header=BB78_13 Depth=1
	v_mov_b32_e32 v14, v7
	s_mov_b32 s19, s3
	v_mov_b32_e32 v15, v19
.LBB78_26:                              ;   Parent Loop BB78_13 Depth=1
                                        ; =>  This Inner Loop Header: Depth=2
	ds_read_b32 v16, v14
	ds_read_b32 v17, v15
	s_add_i32 s19, s19, -1
	v_add_u32_e32 v15, 4, v15
	v_add_u32_e32 v14, 4, v14
	s_cmp_lg_u32 s19, 0
	s_waitcnt lgkmcnt(0)
	v_fma_f32 v1, v16, v17, v1
	s_cbranch_scc1 .LBB78_26
	s_branch .LBB78_11
.LBB78_27:
	v_mov_b32_e32 v0, 0
	v_mov_b32_e32 v1, v0
.LBB78_28:
	s_and_b64 s[4:5], s[30:31], s[4:5]
	s_and_saveexec_b64 s[6:7], s[4:5]
	s_cbranch_execz .LBB78_48
; %bb.29:
	s_mul_i32 s2, s3, s2
	v_add_u32_e32 v6, s2, v6
	s_load_dwordx2 s[2:3], s[0:1], 0x70
	v_ashrrev_i32_e32 v7, 31, v6
	s_cmp_lg_u32 s16, 1
	v_cmp_neq_f32_e64 s[0:1], s28, 0
	s_cselect_b64 s[4:5], -1, 0
	s_waitcnt lgkmcnt(0)
	v_mul_lo_u32 v3, s2, v7
	v_mul_lo_u32 v5, s3, v6
	v_mad_u64_u32 v[8:9], s[6:7], s2, v6, 0
	v_add3_u32 v9, v9, v3, v5
	v_lshl_add_u64 v[8:9], v[8:9], 2, s[36:37]
	v_lshl_add_u64 v[6:7], v[6:7], 2, s[36:37]
	v_cmp_gt_i32_e32 vcc, s15, v4
	s_and_saveexec_b64 s[6:7], vcc
	s_cbranch_execz .LBB78_41
; %bb.30:
	s_and_b64 vcc, exec, s[0:1]
	v_ashrrev_i32_e32 v5, 31, v4
	s_mov_b64 s[8:9], -1
	s_cbranch_vccz .LBB78_36
; %bb.31:
	s_and_b64 vcc, exec, s[4:5]
	s_cbranch_vccz .LBB78_33
; %bb.32:
	v_lshl_add_u64 v[10:11], v[4:5], 2, v[8:9]
	global_load_dword v3, v[10:11], off
	v_mul_f32_e32 v12, s18, v0
	s_mov_b64 s[8:9], 0
	s_waitcnt vmcnt(0)
	v_fmac_f32_e32 v12, s28, v3
	global_store_dword v[10:11], v12, off
.LBB78_33:
	s_andn2_b64 vcc, exec, s[8:9]
	s_cbranch_vccnz .LBB78_35
; %bb.34:
	v_mul_lo_u32 v3, s3, v4
	v_mul_lo_u32 v12, s2, v5
	v_mad_u64_u32 v[10:11], s[8:9], s2, v4, 0
	v_add3_u32 v11, v11, v12, v3
	v_lshl_add_u64 v[10:11], v[10:11], 2, v[6:7]
	global_load_dword v3, v[10:11], off
	v_mul_f32_e32 v12, s18, v0
	s_waitcnt vmcnt(0)
	v_fmac_f32_e32 v12, s28, v3
	global_store_dword v[10:11], v12, off
.LBB78_35:
	s_mov_b64 s[8:9], 0
.LBB78_36:
	s_andn2_b64 vcc, exec, s[8:9]
	s_cbranch_vccnz .LBB78_41
; %bb.37:
	v_mul_f32_e32 v0, s18, v0
	s_mov_b64 s[8:9], -1
	s_and_b64 vcc, exec, s[4:5]
	s_cbranch_vccz .LBB78_39
; %bb.38:
	v_lshl_add_u64 v[10:11], v[4:5], 2, v[8:9]
	global_store_dword v[10:11], v0, off
	s_mov_b64 s[8:9], 0
.LBB78_39:
	s_andn2_b64 vcc, exec, s[8:9]
	s_cbranch_vccnz .LBB78_41
; %bb.40:
	v_mul_lo_u32 v3, s3, v4
	v_mul_lo_u32 v10, s2, v5
	v_mad_u64_u32 v[4:5], s[8:9], s2, v4, 0
	v_add3_u32 v5, v5, v10, v3
	v_lshl_add_u64 v[4:5], v[4:5], 2, v[6:7]
	global_store_dword v[4:5], v0, off
.LBB78_41:
	s_or_b64 exec, exec, s[6:7]
	v_cmp_gt_i32_e32 vcc, s15, v2
	s_and_b64 exec, exec, vcc
	s_cbranch_execz .LBB78_48
; %bb.42:
	v_cndmask_b32_e64 v0, 0, 1, s[4:5]
	s_andn2_b64 vcc, exec, s[0:1]
	v_ashrrev_i32_e32 v3, 31, v2
	v_cmp_ne_u32_e64 s[0:1], 1, v0
	s_cbranch_vccnz .LBB78_49
; %bb.43:
	s_and_b64 vcc, exec, s[0:1]
	s_mov_b64 s[4:5], -1
	s_cbranch_vccnz .LBB78_45
; %bb.44:
	v_lshl_add_u64 v[4:5], v[2:3], 2, v[8:9]
	global_load_dword v0, v[4:5], off
	v_mul_f32_e32 v10, s18, v1
	s_mov_b64 s[4:5], 0
	s_waitcnt vmcnt(0)
	v_fmac_f32_e32 v10, s28, v0
	global_store_dword v[4:5], v10, off
.LBB78_45:
	s_andn2_b64 vcc, exec, s[4:5]
	s_cbranch_vccnz .LBB78_47
; %bb.46:
	v_mul_lo_u32 v0, s3, v2
	v_mul_lo_u32 v10, s2, v3
	v_mad_u64_u32 v[4:5], s[4:5], s2, v2, 0
	v_add3_u32 v5, v5, v10, v0
	v_lshl_add_u64 v[4:5], v[4:5], 2, v[6:7]
	global_load_dword v0, v[4:5], off
	v_mul_f32_e32 v10, s18, v1
	s_waitcnt vmcnt(0)
	v_fmac_f32_e32 v10, s28, v0
	global_store_dword v[4:5], v10, off
.LBB78_47:
	s_cbranch_execz .LBB78_50
.LBB78_48:
	s_endpgm
.LBB78_49:
.LBB78_50:
	v_mul_f32_e32 v0, s18, v1
	s_and_b64 vcc, exec, s[0:1]
	s_mov_b64 s[0:1], -1
	s_cbranch_vccnz .LBB78_52
; %bb.51:
	v_lshl_add_u64 v[4:5], v[2:3], 2, v[8:9]
	s_mov_b64 s[0:1], 0
	global_store_dword v[4:5], v0, off
.LBB78_52:
	s_andn2_b64 vcc, exec, s[0:1]
	s_cbranch_vccnz .LBB78_48
; %bb.53:
	v_mul_lo_u32 v1, s3, v2
	v_mul_lo_u32 v4, s2, v3
	v_mad_u64_u32 v[2:3], s[0:1], s2, v2, 0
	v_add3_u32 v3, v3, v4, v1
	v_lshl_add_u64 v[2:3], v[2:3], 2, v[6:7]
	global_store_dword v[2:3], v0, off
	s_endpgm
	.section	.rodata,"a",@progbits
	.p2align	6, 0x0
	.amdhsa_kernel _ZN9rocsparseL31bsrmm_large_blockdim_kernel_extILj16ELj16ELj2EliaaffEEvb20rocsparse_direction_T3_S2_llNS_24const_host_device_scalarIT7_EEPKT2_PKS2_PKT4_S2_PKT5_llS5_PT6_ll16rocsparse_order_21rocsparse_index_base_b
		.amdhsa_group_segment_fixed_size 3072
		.amdhsa_private_segment_fixed_size 0
		.amdhsa_kernarg_size 140
		.amdhsa_user_sgpr_count 2
		.amdhsa_user_sgpr_dispatch_ptr 0
		.amdhsa_user_sgpr_queue_ptr 0
		.amdhsa_user_sgpr_kernarg_segment_ptr 1
		.amdhsa_user_sgpr_dispatch_id 0
		.amdhsa_user_sgpr_kernarg_preload_length 0
		.amdhsa_user_sgpr_kernarg_preload_offset 0
		.amdhsa_user_sgpr_private_segment_size 0
		.amdhsa_uses_dynamic_stack 0
		.amdhsa_enable_private_segment 0
		.amdhsa_system_sgpr_workgroup_id_x 1
		.amdhsa_system_sgpr_workgroup_id_y 1
		.amdhsa_system_sgpr_workgroup_id_z 0
		.amdhsa_system_sgpr_workgroup_info 0
		.amdhsa_system_vgpr_workitem_id 1
		.amdhsa_next_free_vgpr 26
		.amdhsa_next_free_sgpr 42
		.amdhsa_accum_offset 28
		.amdhsa_reserve_vcc 1
		.amdhsa_float_round_mode_32 0
		.amdhsa_float_round_mode_16_64 0
		.amdhsa_float_denorm_mode_32 3
		.amdhsa_float_denorm_mode_16_64 3
		.amdhsa_dx10_clamp 1
		.amdhsa_ieee_mode 1
		.amdhsa_fp16_overflow 0
		.amdhsa_tg_split 0
		.amdhsa_exception_fp_ieee_invalid_op 0
		.amdhsa_exception_fp_denorm_src 0
		.amdhsa_exception_fp_ieee_div_zero 0
		.amdhsa_exception_fp_ieee_overflow 0
		.amdhsa_exception_fp_ieee_underflow 0
		.amdhsa_exception_fp_ieee_inexact 0
		.amdhsa_exception_int_div_zero 0
	.end_amdhsa_kernel
	.section	.text._ZN9rocsparseL31bsrmm_large_blockdim_kernel_extILj16ELj16ELj2EliaaffEEvb20rocsparse_direction_T3_S2_llNS_24const_host_device_scalarIT7_EEPKT2_PKS2_PKT4_S2_PKT5_llS5_PT6_ll16rocsparse_order_21rocsparse_index_base_b,"axG",@progbits,_ZN9rocsparseL31bsrmm_large_blockdim_kernel_extILj16ELj16ELj2EliaaffEEvb20rocsparse_direction_T3_S2_llNS_24const_host_device_scalarIT7_EEPKT2_PKS2_PKT4_S2_PKT5_llS5_PT6_ll16rocsparse_order_21rocsparse_index_base_b,comdat
.Lfunc_end78:
	.size	_ZN9rocsparseL31bsrmm_large_blockdim_kernel_extILj16ELj16ELj2EliaaffEEvb20rocsparse_direction_T3_S2_llNS_24const_host_device_scalarIT7_EEPKT2_PKS2_PKT4_S2_PKT5_llS5_PT6_ll16rocsparse_order_21rocsparse_index_base_b, .Lfunc_end78-_ZN9rocsparseL31bsrmm_large_blockdim_kernel_extILj16ELj16ELj2EliaaffEEvb20rocsparse_direction_T3_S2_llNS_24const_host_device_scalarIT7_EEPKT2_PKS2_PKT4_S2_PKT5_llS5_PT6_ll16rocsparse_order_21rocsparse_index_base_b
                                        ; -- End function
	.set _ZN9rocsparseL31bsrmm_large_blockdim_kernel_extILj16ELj16ELj2EliaaffEEvb20rocsparse_direction_T3_S2_llNS_24const_host_device_scalarIT7_EEPKT2_PKS2_PKT4_S2_PKT5_llS5_PT6_ll16rocsparse_order_21rocsparse_index_base_b.num_vgpr, 26
	.set _ZN9rocsparseL31bsrmm_large_blockdim_kernel_extILj16ELj16ELj2EliaaffEEvb20rocsparse_direction_T3_S2_llNS_24const_host_device_scalarIT7_EEPKT2_PKS2_PKT4_S2_PKT5_llS5_PT6_ll16rocsparse_order_21rocsparse_index_base_b.num_agpr, 0
	.set _ZN9rocsparseL31bsrmm_large_blockdim_kernel_extILj16ELj16ELj2EliaaffEEvb20rocsparse_direction_T3_S2_llNS_24const_host_device_scalarIT7_EEPKT2_PKS2_PKT4_S2_PKT5_llS5_PT6_ll16rocsparse_order_21rocsparse_index_base_b.numbered_sgpr, 42
	.set _ZN9rocsparseL31bsrmm_large_blockdim_kernel_extILj16ELj16ELj2EliaaffEEvb20rocsparse_direction_T3_S2_llNS_24const_host_device_scalarIT7_EEPKT2_PKS2_PKT4_S2_PKT5_llS5_PT6_ll16rocsparse_order_21rocsparse_index_base_b.num_named_barrier, 0
	.set _ZN9rocsparseL31bsrmm_large_blockdim_kernel_extILj16ELj16ELj2EliaaffEEvb20rocsparse_direction_T3_S2_llNS_24const_host_device_scalarIT7_EEPKT2_PKS2_PKT4_S2_PKT5_llS5_PT6_ll16rocsparse_order_21rocsparse_index_base_b.private_seg_size, 0
	.set _ZN9rocsparseL31bsrmm_large_blockdim_kernel_extILj16ELj16ELj2EliaaffEEvb20rocsparse_direction_T3_S2_llNS_24const_host_device_scalarIT7_EEPKT2_PKS2_PKT4_S2_PKT5_llS5_PT6_ll16rocsparse_order_21rocsparse_index_base_b.uses_vcc, 1
	.set _ZN9rocsparseL31bsrmm_large_blockdim_kernel_extILj16ELj16ELj2EliaaffEEvb20rocsparse_direction_T3_S2_llNS_24const_host_device_scalarIT7_EEPKT2_PKS2_PKT4_S2_PKT5_llS5_PT6_ll16rocsparse_order_21rocsparse_index_base_b.uses_flat_scratch, 0
	.set _ZN9rocsparseL31bsrmm_large_blockdim_kernel_extILj16ELj16ELj2EliaaffEEvb20rocsparse_direction_T3_S2_llNS_24const_host_device_scalarIT7_EEPKT2_PKS2_PKT4_S2_PKT5_llS5_PT6_ll16rocsparse_order_21rocsparse_index_base_b.has_dyn_sized_stack, 0
	.set _ZN9rocsparseL31bsrmm_large_blockdim_kernel_extILj16ELj16ELj2EliaaffEEvb20rocsparse_direction_T3_S2_llNS_24const_host_device_scalarIT7_EEPKT2_PKS2_PKT4_S2_PKT5_llS5_PT6_ll16rocsparse_order_21rocsparse_index_base_b.has_recursion, 0
	.set _ZN9rocsparseL31bsrmm_large_blockdim_kernel_extILj16ELj16ELj2EliaaffEEvb20rocsparse_direction_T3_S2_llNS_24const_host_device_scalarIT7_EEPKT2_PKS2_PKT4_S2_PKT5_llS5_PT6_ll16rocsparse_order_21rocsparse_index_base_b.has_indirect_call, 0
	.section	.AMDGPU.csdata,"",@progbits
; Kernel info:
; codeLenInByte = 1688
; TotalNumSgprs: 48
; NumVgprs: 26
; NumAgprs: 0
; TotalNumVgprs: 26
; ScratchSize: 0
; MemoryBound: 0
; FloatMode: 240
; IeeeMode: 1
; LDSByteSize: 3072 bytes/workgroup (compile time only)
; SGPRBlocks: 5
; VGPRBlocks: 3
; NumSGPRsForWavesPerEU: 48
; NumVGPRsForWavesPerEU: 26
; AccumOffset: 28
; Occupancy: 8
; WaveLimiterHint : 1
; COMPUTE_PGM_RSRC2:SCRATCH_EN: 0
; COMPUTE_PGM_RSRC2:USER_SGPR: 2
; COMPUTE_PGM_RSRC2:TRAP_HANDLER: 0
; COMPUTE_PGM_RSRC2:TGID_X_EN: 1
; COMPUTE_PGM_RSRC2:TGID_Y_EN: 1
; COMPUTE_PGM_RSRC2:TGID_Z_EN: 0
; COMPUTE_PGM_RSRC2:TIDIG_COMP_CNT: 1
; COMPUTE_PGM_RSRC3_GFX90A:ACCUM_OFFSET: 6
; COMPUTE_PGM_RSRC3_GFX90A:TG_SPLIT: 0
	.section	.text._ZN9rocsparseL31bsrmm_large_blockdim_kernel_extILj32ELj32ELj2EliaaffEEvb20rocsparse_direction_T3_S2_llNS_24const_host_device_scalarIT7_EEPKT2_PKS2_PKT4_S2_PKT5_llS5_PT6_ll16rocsparse_order_21rocsparse_index_base_b,"axG",@progbits,_ZN9rocsparseL31bsrmm_large_blockdim_kernel_extILj32ELj32ELj2EliaaffEEvb20rocsparse_direction_T3_S2_llNS_24const_host_device_scalarIT7_EEPKT2_PKS2_PKT4_S2_PKT5_llS5_PT6_ll16rocsparse_order_21rocsparse_index_base_b,comdat
	.globl	_ZN9rocsparseL31bsrmm_large_blockdim_kernel_extILj32ELj32ELj2EliaaffEEvb20rocsparse_direction_T3_S2_llNS_24const_host_device_scalarIT7_EEPKT2_PKS2_PKT4_S2_PKT5_llS5_PT6_ll16rocsparse_order_21rocsparse_index_base_b ; -- Begin function _ZN9rocsparseL31bsrmm_large_blockdim_kernel_extILj32ELj32ELj2EliaaffEEvb20rocsparse_direction_T3_S2_llNS_24const_host_device_scalarIT7_EEPKT2_PKS2_PKT4_S2_PKT5_llS5_PT6_ll16rocsparse_order_21rocsparse_index_base_b
	.p2align	8
	.type	_ZN9rocsparseL31bsrmm_large_blockdim_kernel_extILj32ELj32ELj2EliaaffEEvb20rocsparse_direction_T3_S2_llNS_24const_host_device_scalarIT7_EEPKT2_PKS2_PKT4_S2_PKT5_llS5_PT6_ll16rocsparse_order_21rocsparse_index_base_b,@function
_ZN9rocsparseL31bsrmm_large_blockdim_kernel_extILj32ELj32ELj2EliaaffEEvb20rocsparse_direction_T3_S2_llNS_24const_host_device_scalarIT7_EEPKT2_PKS2_PKT4_S2_PKT5_llS5_PT6_ll16rocsparse_order_21rocsparse_index_base_b: ; @_ZN9rocsparseL31bsrmm_large_blockdim_kernel_extILj32ELj32ELj2EliaaffEEvb20rocsparse_direction_T3_S2_llNS_24const_host_device_scalarIT7_EEPKT2_PKS2_PKT4_S2_PKT5_llS5_PT6_ll16rocsparse_order_21rocsparse_index_base_b
; %bb.0:
	s_load_dwordx4 s[16:19], s[0:1], 0x80
	s_mov_b32 s4, s3
	s_waitcnt lgkmcnt(0)
	s_bitcmp1_b32 s18, 0
	s_load_dwordx2 s[18:19], s[0:1], 0x20
	s_load_dwordx2 s[28:29], s[0:1], 0x60
	s_cselect_b64 s[8:9], -1, 0
	s_xor_b64 s[6:7], s[8:9], -1
	s_and_b64 vcc, exec, s[8:9]
	s_cbranch_vccnz .LBB79_2
; %bb.1:
	s_waitcnt lgkmcnt(0)
	s_load_dword s18, s[18:19], 0x0
.LBB79_2:
	s_andn2_b64 vcc, exec, s[6:7]
	s_cbranch_vccnz .LBB79_4
; %bb.3:
	s_waitcnt lgkmcnt(0)
	s_load_dword s28, s[28:29], 0x0
.LBB79_4:
	s_waitcnt lgkmcnt(0)
	v_cmp_eq_f32_e64 s[6:7], s18, 0
	v_cmp_eq_f32_e64 s[8:9], s28, 1.0
	s_and_b64 s[6:7], s[6:7], s[8:9]
	s_and_b64 vcc, exec, s[6:7]
	s_cbranch_vccnz .LBB79_48
; %bb.5:
	s_load_dwordx4 s[12:15], s[0:1], 0x0
	s_load_dwordx2 s[6:7], s[0:1], 0x28
	s_mov_b64 s[40:41], 0
	s_mov_b64 s[36:37], 0
	s_waitcnt lgkmcnt(0)
	s_cmp_lt_i32 s2, s14
	s_cselect_b64 s[30:31], -1, 0
	s_cmp_ge_i32 s2, s14
	s_cbranch_scc1 .LBB79_7
; %bb.6:
	s_ashr_i32 s3, s2, 31
	s_lshl_b64 s[8:9], s[2:3], 3
	s_add_u32 s8, s6, s8
	s_addc_u32 s9, s7, s9
	s_load_dwordx2 s[8:9], s[8:9], 0x0
	s_waitcnt lgkmcnt(0)
	s_sub_u32 s36, s8, s17
	s_subb_u32 s37, s9, 0
.LBB79_7:
	s_andn2_b64 vcc, exec, s[30:31]
	s_cbranch_vccnz .LBB79_9
; %bb.8:
	s_ashr_i32 s3, s2, 31
	s_lshl_b64 s[8:9], s[2:3], 3
	s_add_u32 s6, s6, s8
	s_addc_u32 s7, s7, s9
	s_load_dwordx2 s[6:7], s[6:7], 0x8
	s_waitcnt lgkmcnt(0)
	s_sub_u32 s40, s6, s17
	s_subb_u32 s41, s7, 0
.LBB79_9:
	s_load_dwordx2 s[34:35], s[0:1], 0x68
	s_load_dword s3, s[0:1], 0x40
	v_bfe_u32 v8, v0, 10, 10
	v_lshl_add_u32 v4, s4, 6, v8
	v_and_b32_e32 v6, 0x3ff, v0
	v_mov_b64_e32 v[0:1], s[40:41]
	v_add_u32_e32 v2, 32, v4
	v_cmp_ge_i64_e32 vcc, s[36:37], v[0:1]
	s_waitcnt lgkmcnt(0)
	v_cmp_gt_i32_e64 s[4:5], s3, v6
	v_cmp_gt_i32_e64 s[6:7], s15, v4
	;; [unrolled: 1-line block ×3, first 2 shown]
	s_cbranch_vccnz .LBB79_27
; %bb.10:
	s_load_dwordx4 s[20:23], s[0:1], 0x30
	s_load_dwordx4 s[24:27], s[0:1], 0x48
	v_mov_b32_e32 v0, 0x2000
	v_cmp_gt_i32_e32 vcc, s3, v8
	v_lshl_or_b32 v16, v8, 2, v0
	v_mul_lo_u32 v0, s3, v8
	v_mov_b32_e32 v1, 0
	s_and_b64 s[38:39], s[4:5], vcc
	v_mov_b32_e32 v7, v1
	s_waitcnt lgkmcnt(0)
	v_lshl_add_u64 v[10:11], s[22:23], 0, v[0:1]
	v_mul_lo_u32 v0, s3, v6
	s_bitcmp1_b32 s12, 0
	v_lshl_add_u64 v[12:13], v[10:11], 0, v[6:7]
	v_mov_b32_e32 v9, v1
	v_lshl_add_u64 v[10:11], s[22:23], 0, v[0:1]
	v_ashrrev_i32_e32 v5, 31, v4
	s_cselect_b64 s[10:11], -1, 0
	v_lshlrev_b32_e32 v20, 7, v8
	s_cmp_eq_u32 s13, 0
	v_lshl_add_u64 v[14:15], v[10:11], 0, v[8:9]
	v_mul_lo_u32 v0, s27, v4
	v_mul_lo_u32 v3, s26, v5
	v_mad_u64_u32 v[8:9], s[12:13], s26, v4, 0
	v_add3_u32 v9, v9, v3, v0
	v_ashrrev_i32_e32 v3, 31, v2
	v_lshlrev_b32_e32 v17, 2, v6
	v_lshlrev_b32_e32 v18, 7, v6
	v_mul_lo_u32 v0, s27, v2
	v_mul_lo_u32 v7, s26, v3
	v_mad_u64_u32 v[10:11], s[12:13], s26, v2, 0
	s_cselect_b64 vcc, -1, 0
	s_mul_i32 s14, s3, s3
	v_add3_u32 v11, v11, v7, v0
	v_cndmask_b32_e32 v13, v13, v15, vcc
	v_cndmask_b32_e32 v12, v12, v14, vcc
	v_add_u32_e32 v7, 0x2000, v18
	v_add_u32_e32 v21, 0x1000, v20
	v_mov_b32_e32 v0, v1
	v_add_u32_e32 v22, v17, v20
	v_add_u32_e32 v23, v16, v18
	v_mov_b64_e32 v[14:15], s[40:41]
	s_branch .LBB79_13
.LBB79_11:                              ;   in Loop: Header=BB79_13 Depth=1
	s_or_b64 exec, exec, s[22:23]
.LBB79_12:                              ;   in Loop: Header=BB79_13 Depth=1
	s_or_b64 exec, exec, s[12:13]
	s_add_u32 s36, s36, 1
	s_addc_u32 s37, s37, 0
	v_cmp_ge_i64_e32 vcc, s[36:37], v[14:15]
	s_barrier
	s_cbranch_vccnz .LBB79_28
.LBB79_13:                              ; =>This Loop Header: Depth=1
                                        ;     Child Loop BB79_23 Depth 2
                                        ;     Child Loop BB79_26 Depth 2
	s_and_saveexec_b64 s[12:13], s[4:5]
	s_cbranch_execz .LBB79_18
; %bb.14:                               ;   in Loop: Header=BB79_13 Depth=1
	s_lshl_b64 s[22:23], s[36:37], 2
	s_add_u32 s22, s20, s22
	s_addc_u32 s23, s21, s23
	s_load_dword s19, s[22:23], 0x0
	v_mov_b64_e32 v[16:17], s[24:25]
	s_waitcnt lgkmcnt(0)
	s_sub_i32 s19, s19, s17
	s_mul_i32 s19, s19, s3
	v_add_u32_e32 v18, s19, v6
	v_ashrrev_i32_e32 v19, 31, v18
	v_mul_lo_u32 v24, s27, v18
	v_mad_u64_u32 v[16:17], s[22:23], s26, v18, v[16:17]
	v_mul_lo_u32 v25, s26, v19
	v_add3_u32 v17, v24, v17, v25
	v_lshl_add_u64 v[18:19], s[24:25], 0, v[18:19]
	s_and_saveexec_b64 s[22:23], s[6:7]
	s_cbranch_execz .LBB79_16
; %bb.15:                               ;   in Loop: Header=BB79_13 Depth=1
	v_lshl_add_u64 v[24:25], v[16:17], 0, v[4:5]
	v_lshl_add_u64 v[26:27], v[18:19], 0, v[8:9]
	v_cndmask_b32_e64 v25, v25, v27, s[10:11]
	v_cndmask_b32_e64 v24, v24, v26, s[10:11]
	global_load_sbyte v24, v[24:25], off
	s_waitcnt vmcnt(0)
	v_cvt_f32_i32_e32 v24, v24
	ds_write_b32 v22, v24
.LBB79_16:                              ;   in Loop: Header=BB79_13 Depth=1
	s_or_b64 exec, exec, s[22:23]
	s_and_b64 exec, exec, s[8:9]
	s_cbranch_execz .LBB79_18
; %bb.17:                               ;   in Loop: Header=BB79_13 Depth=1
	v_lshl_add_u64 v[18:19], v[18:19], 0, v[10:11]
	v_lshl_add_u64 v[16:17], v[16:17], 0, v[2:3]
	v_cndmask_b32_e64 v17, v17, v19, s[10:11]
	v_cndmask_b32_e64 v16, v16, v18, s[10:11]
	global_load_sbyte v16, v[16:17], off
	s_waitcnt vmcnt(0)
	v_cvt_f32_i32_e32 v16, v16
	ds_write_b32 v22, v16 offset:4096
.LBB79_18:                              ;   in Loop: Header=BB79_13 Depth=1
	s_or_b64 exec, exec, s[12:13]
	s_and_saveexec_b64 s[12:13], s[38:39]
	s_cbranch_execz .LBB79_20
; %bb.19:                               ;   in Loop: Header=BB79_13 Depth=1
	v_mov_b32_e32 v16, s14
	v_mad_u64_u32 v[16:17], s[22:23], s36, v16, v[12:13]
	s_mul_i32 s19, s37, s14
	v_add_u32_e32 v17, s19, v17
	global_load_sbyte v16, v[16:17], off
	s_waitcnt vmcnt(0)
	v_cvt_f32_i32_e32 v16, v16
	ds_write_b32 v23, v16
.LBB79_20:                              ;   in Loop: Header=BB79_13 Depth=1
	s_or_b64 exec, exec, s[12:13]
	s_waitcnt lgkmcnt(0)
	s_barrier
	s_and_saveexec_b64 s[12:13], s[4:5]
	s_cbranch_execz .LBB79_12
; %bb.21:                               ;   in Loop: Header=BB79_13 Depth=1
	s_and_saveexec_b64 s[22:23], s[6:7]
	s_cbranch_execz .LBB79_24
; %bb.22:                               ;   in Loop: Header=BB79_13 Depth=1
	v_mov_b32_e32 v16, v7
	v_mov_b32_e32 v17, v20
	s_mov_b32 s19, s3
.LBB79_23:                              ;   Parent Loop BB79_13 Depth=1
                                        ; =>  This Inner Loop Header: Depth=2
	ds_read_b32 v18, v16
	ds_read_b32 v19, v17
	s_add_i32 s19, s19, -1
	v_add_u32_e32 v17, 4, v17
	v_add_u32_e32 v16, 4, v16
	s_cmp_lg_u32 s19, 0
	s_waitcnt lgkmcnt(0)
	v_fma_f32 v0, v18, v19, v0
	s_cbranch_scc1 .LBB79_23
.LBB79_24:                              ;   in Loop: Header=BB79_13 Depth=1
	s_or_b64 exec, exec, s[22:23]
	s_and_saveexec_b64 s[22:23], s[8:9]
	s_cbranch_execz .LBB79_11
; %bb.25:                               ;   in Loop: Header=BB79_13 Depth=1
	v_mov_b32_e32 v16, v7
	s_mov_b32 s19, s3
	v_mov_b32_e32 v17, v21
.LBB79_26:                              ;   Parent Loop BB79_13 Depth=1
                                        ; =>  This Inner Loop Header: Depth=2
	ds_read_b32 v18, v16
	ds_read_b32 v19, v17
	s_add_i32 s19, s19, -1
	v_add_u32_e32 v17, 4, v17
	v_add_u32_e32 v16, 4, v16
	s_cmp_lg_u32 s19, 0
	s_waitcnt lgkmcnt(0)
	v_fma_f32 v1, v18, v19, v1
	s_cbranch_scc1 .LBB79_26
	s_branch .LBB79_11
.LBB79_27:
	v_mov_b32_e32 v0, 0
	v_mov_b32_e32 v1, v0
.LBB79_28:
	s_and_b64 s[4:5], s[30:31], s[4:5]
	s_and_saveexec_b64 s[6:7], s[4:5]
	s_cbranch_execz .LBB79_48
; %bb.29:
	s_mul_i32 s2, s3, s2
	v_add_u32_e32 v6, s2, v6
	s_load_dwordx2 s[2:3], s[0:1], 0x70
	v_ashrrev_i32_e32 v7, 31, v6
	s_cmp_lg_u32 s16, 1
	v_cmp_neq_f32_e64 s[0:1], s28, 0
	s_cselect_b64 s[4:5], -1, 0
	s_waitcnt lgkmcnt(0)
	v_mul_lo_u32 v3, s2, v7
	v_mul_lo_u32 v5, s3, v6
	v_mad_u64_u32 v[8:9], s[6:7], s2, v6, 0
	v_add3_u32 v9, v9, v3, v5
	v_lshl_add_u64 v[8:9], v[8:9], 2, s[34:35]
	v_lshl_add_u64 v[6:7], v[6:7], 2, s[34:35]
	v_cmp_gt_i32_e32 vcc, s15, v4
	s_and_saveexec_b64 s[6:7], vcc
	s_cbranch_execz .LBB79_41
; %bb.30:
	s_and_b64 vcc, exec, s[0:1]
	v_ashrrev_i32_e32 v5, 31, v4
	s_mov_b64 s[8:9], -1
	s_cbranch_vccz .LBB79_36
; %bb.31:
	s_and_b64 vcc, exec, s[4:5]
	s_cbranch_vccz .LBB79_33
; %bb.32:
	v_lshl_add_u64 v[10:11], v[4:5], 2, v[8:9]
	global_load_dword v3, v[10:11], off
	v_mul_f32_e32 v12, s18, v0
	s_mov_b64 s[8:9], 0
	s_waitcnt vmcnt(0)
	v_fmac_f32_e32 v12, s28, v3
	global_store_dword v[10:11], v12, off
.LBB79_33:
	s_andn2_b64 vcc, exec, s[8:9]
	s_cbranch_vccnz .LBB79_35
; %bb.34:
	v_mul_lo_u32 v3, s3, v4
	v_mul_lo_u32 v12, s2, v5
	v_mad_u64_u32 v[10:11], s[8:9], s2, v4, 0
	v_add3_u32 v11, v11, v12, v3
	v_lshl_add_u64 v[10:11], v[10:11], 2, v[6:7]
	global_load_dword v3, v[10:11], off
	v_mul_f32_e32 v12, s18, v0
	s_waitcnt vmcnt(0)
	v_fmac_f32_e32 v12, s28, v3
	global_store_dword v[10:11], v12, off
.LBB79_35:
	s_mov_b64 s[8:9], 0
.LBB79_36:
	s_andn2_b64 vcc, exec, s[8:9]
	s_cbranch_vccnz .LBB79_41
; %bb.37:
	v_mul_f32_e32 v0, s18, v0
	s_mov_b64 s[8:9], -1
	s_and_b64 vcc, exec, s[4:5]
	s_cbranch_vccz .LBB79_39
; %bb.38:
	v_lshl_add_u64 v[10:11], v[4:5], 2, v[8:9]
	global_store_dword v[10:11], v0, off
	s_mov_b64 s[8:9], 0
.LBB79_39:
	s_andn2_b64 vcc, exec, s[8:9]
	s_cbranch_vccnz .LBB79_41
; %bb.40:
	v_mul_lo_u32 v3, s3, v4
	v_mul_lo_u32 v10, s2, v5
	v_mad_u64_u32 v[4:5], s[8:9], s2, v4, 0
	v_add3_u32 v5, v5, v10, v3
	v_lshl_add_u64 v[4:5], v[4:5], 2, v[6:7]
	global_store_dword v[4:5], v0, off
.LBB79_41:
	s_or_b64 exec, exec, s[6:7]
	v_cmp_gt_i32_e32 vcc, s15, v2
	s_and_b64 exec, exec, vcc
	s_cbranch_execz .LBB79_48
; %bb.42:
	v_cndmask_b32_e64 v0, 0, 1, s[4:5]
	s_andn2_b64 vcc, exec, s[0:1]
	v_ashrrev_i32_e32 v3, 31, v2
	v_cmp_ne_u32_e64 s[0:1], 1, v0
	s_cbranch_vccnz .LBB79_49
; %bb.43:
	s_and_b64 vcc, exec, s[0:1]
	s_mov_b64 s[4:5], -1
	s_cbranch_vccnz .LBB79_45
; %bb.44:
	v_lshl_add_u64 v[4:5], v[2:3], 2, v[8:9]
	global_load_dword v0, v[4:5], off
	v_mul_f32_e32 v10, s18, v1
	s_mov_b64 s[4:5], 0
	s_waitcnt vmcnt(0)
	v_fmac_f32_e32 v10, s28, v0
	global_store_dword v[4:5], v10, off
.LBB79_45:
	s_andn2_b64 vcc, exec, s[4:5]
	s_cbranch_vccnz .LBB79_47
; %bb.46:
	v_mul_lo_u32 v0, s3, v2
	v_mul_lo_u32 v10, s2, v3
	v_mad_u64_u32 v[4:5], s[4:5], s2, v2, 0
	v_add3_u32 v5, v5, v10, v0
	v_lshl_add_u64 v[4:5], v[4:5], 2, v[6:7]
	global_load_dword v0, v[4:5], off
	v_mul_f32_e32 v10, s18, v1
	s_waitcnt vmcnt(0)
	v_fmac_f32_e32 v10, s28, v0
	global_store_dword v[4:5], v10, off
.LBB79_47:
	s_cbranch_execz .LBB79_50
.LBB79_48:
	s_endpgm
.LBB79_49:
.LBB79_50:
	v_mul_f32_e32 v0, s18, v1
	s_and_b64 vcc, exec, s[0:1]
	s_mov_b64 s[0:1], -1
	s_cbranch_vccnz .LBB79_52
; %bb.51:
	v_lshl_add_u64 v[4:5], v[2:3], 2, v[8:9]
	s_mov_b64 s[0:1], 0
	global_store_dword v[4:5], v0, off
.LBB79_52:
	s_andn2_b64 vcc, exec, s[0:1]
	s_cbranch_vccnz .LBB79_48
; %bb.53:
	v_mul_lo_u32 v1, s3, v2
	v_mul_lo_u32 v4, s2, v3
	v_mad_u64_u32 v[2:3], s[0:1], s2, v2, 0
	v_add3_u32 v3, v3, v4, v1
	v_lshl_add_u64 v[2:3], v[2:3], 2, v[6:7]
	global_store_dword v[2:3], v0, off
	s_endpgm
	.section	.rodata,"a",@progbits
	.p2align	6, 0x0
	.amdhsa_kernel _ZN9rocsparseL31bsrmm_large_blockdim_kernel_extILj32ELj32ELj2EliaaffEEvb20rocsparse_direction_T3_S2_llNS_24const_host_device_scalarIT7_EEPKT2_PKS2_PKT4_S2_PKT5_llS5_PT6_ll16rocsparse_order_21rocsparse_index_base_b
		.amdhsa_group_segment_fixed_size 12288
		.amdhsa_private_segment_fixed_size 0
		.amdhsa_kernarg_size 140
		.amdhsa_user_sgpr_count 2
		.amdhsa_user_sgpr_dispatch_ptr 0
		.amdhsa_user_sgpr_queue_ptr 0
		.amdhsa_user_sgpr_kernarg_segment_ptr 1
		.amdhsa_user_sgpr_dispatch_id 0
		.amdhsa_user_sgpr_kernarg_preload_length 0
		.amdhsa_user_sgpr_kernarg_preload_offset 0
		.amdhsa_user_sgpr_private_segment_size 0
		.amdhsa_uses_dynamic_stack 0
		.amdhsa_enable_private_segment 0
		.amdhsa_system_sgpr_workgroup_id_x 1
		.amdhsa_system_sgpr_workgroup_id_y 1
		.amdhsa_system_sgpr_workgroup_id_z 0
		.amdhsa_system_sgpr_workgroup_info 0
		.amdhsa_system_vgpr_workitem_id 1
		.amdhsa_next_free_vgpr 28
		.amdhsa_next_free_sgpr 42
		.amdhsa_accum_offset 28
		.amdhsa_reserve_vcc 1
		.amdhsa_float_round_mode_32 0
		.amdhsa_float_round_mode_16_64 0
		.amdhsa_float_denorm_mode_32 3
		.amdhsa_float_denorm_mode_16_64 3
		.amdhsa_dx10_clamp 1
		.amdhsa_ieee_mode 1
		.amdhsa_fp16_overflow 0
		.amdhsa_tg_split 0
		.amdhsa_exception_fp_ieee_invalid_op 0
		.amdhsa_exception_fp_denorm_src 0
		.amdhsa_exception_fp_ieee_div_zero 0
		.amdhsa_exception_fp_ieee_overflow 0
		.amdhsa_exception_fp_ieee_underflow 0
		.amdhsa_exception_fp_ieee_inexact 0
		.amdhsa_exception_int_div_zero 0
	.end_amdhsa_kernel
	.section	.text._ZN9rocsparseL31bsrmm_large_blockdim_kernel_extILj32ELj32ELj2EliaaffEEvb20rocsparse_direction_T3_S2_llNS_24const_host_device_scalarIT7_EEPKT2_PKS2_PKT4_S2_PKT5_llS5_PT6_ll16rocsparse_order_21rocsparse_index_base_b,"axG",@progbits,_ZN9rocsparseL31bsrmm_large_blockdim_kernel_extILj32ELj32ELj2EliaaffEEvb20rocsparse_direction_T3_S2_llNS_24const_host_device_scalarIT7_EEPKT2_PKS2_PKT4_S2_PKT5_llS5_PT6_ll16rocsparse_order_21rocsparse_index_base_b,comdat
.Lfunc_end79:
	.size	_ZN9rocsparseL31bsrmm_large_blockdim_kernel_extILj32ELj32ELj2EliaaffEEvb20rocsparse_direction_T3_S2_llNS_24const_host_device_scalarIT7_EEPKT2_PKS2_PKT4_S2_PKT5_llS5_PT6_ll16rocsparse_order_21rocsparse_index_base_b, .Lfunc_end79-_ZN9rocsparseL31bsrmm_large_blockdim_kernel_extILj32ELj32ELj2EliaaffEEvb20rocsparse_direction_T3_S2_llNS_24const_host_device_scalarIT7_EEPKT2_PKS2_PKT4_S2_PKT5_llS5_PT6_ll16rocsparse_order_21rocsparse_index_base_b
                                        ; -- End function
	.set _ZN9rocsparseL31bsrmm_large_blockdim_kernel_extILj32ELj32ELj2EliaaffEEvb20rocsparse_direction_T3_S2_llNS_24const_host_device_scalarIT7_EEPKT2_PKS2_PKT4_S2_PKT5_llS5_PT6_ll16rocsparse_order_21rocsparse_index_base_b.num_vgpr, 28
	.set _ZN9rocsparseL31bsrmm_large_blockdim_kernel_extILj32ELj32ELj2EliaaffEEvb20rocsparse_direction_T3_S2_llNS_24const_host_device_scalarIT7_EEPKT2_PKS2_PKT4_S2_PKT5_llS5_PT6_ll16rocsparse_order_21rocsparse_index_base_b.num_agpr, 0
	.set _ZN9rocsparseL31bsrmm_large_blockdim_kernel_extILj32ELj32ELj2EliaaffEEvb20rocsparse_direction_T3_S2_llNS_24const_host_device_scalarIT7_EEPKT2_PKS2_PKT4_S2_PKT5_llS5_PT6_ll16rocsparse_order_21rocsparse_index_base_b.numbered_sgpr, 42
	.set _ZN9rocsparseL31bsrmm_large_blockdim_kernel_extILj32ELj32ELj2EliaaffEEvb20rocsparse_direction_T3_S2_llNS_24const_host_device_scalarIT7_EEPKT2_PKS2_PKT4_S2_PKT5_llS5_PT6_ll16rocsparse_order_21rocsparse_index_base_b.num_named_barrier, 0
	.set _ZN9rocsparseL31bsrmm_large_blockdim_kernel_extILj32ELj32ELj2EliaaffEEvb20rocsparse_direction_T3_S2_llNS_24const_host_device_scalarIT7_EEPKT2_PKS2_PKT4_S2_PKT5_llS5_PT6_ll16rocsparse_order_21rocsparse_index_base_b.private_seg_size, 0
	.set _ZN9rocsparseL31bsrmm_large_blockdim_kernel_extILj32ELj32ELj2EliaaffEEvb20rocsparse_direction_T3_S2_llNS_24const_host_device_scalarIT7_EEPKT2_PKS2_PKT4_S2_PKT5_llS5_PT6_ll16rocsparse_order_21rocsparse_index_base_b.uses_vcc, 1
	.set _ZN9rocsparseL31bsrmm_large_blockdim_kernel_extILj32ELj32ELj2EliaaffEEvb20rocsparse_direction_T3_S2_llNS_24const_host_device_scalarIT7_EEPKT2_PKS2_PKT4_S2_PKT5_llS5_PT6_ll16rocsparse_order_21rocsparse_index_base_b.uses_flat_scratch, 0
	.set _ZN9rocsparseL31bsrmm_large_blockdim_kernel_extILj32ELj32ELj2EliaaffEEvb20rocsparse_direction_T3_S2_llNS_24const_host_device_scalarIT7_EEPKT2_PKS2_PKT4_S2_PKT5_llS5_PT6_ll16rocsparse_order_21rocsparse_index_base_b.has_dyn_sized_stack, 0
	.set _ZN9rocsparseL31bsrmm_large_blockdim_kernel_extILj32ELj32ELj2EliaaffEEvb20rocsparse_direction_T3_S2_llNS_24const_host_device_scalarIT7_EEPKT2_PKS2_PKT4_S2_PKT5_llS5_PT6_ll16rocsparse_order_21rocsparse_index_base_b.has_recursion, 0
	.set _ZN9rocsparseL31bsrmm_large_blockdim_kernel_extILj32ELj32ELj2EliaaffEEvb20rocsparse_direction_T3_S2_llNS_24const_host_device_scalarIT7_EEPKT2_PKS2_PKT4_S2_PKT5_llS5_PT6_ll16rocsparse_order_21rocsparse_index_base_b.has_indirect_call, 0
	.section	.AMDGPU.csdata,"",@progbits
; Kernel info:
; codeLenInByte = 1688
; TotalNumSgprs: 48
; NumVgprs: 28
; NumAgprs: 0
; TotalNumVgprs: 28
; ScratchSize: 0
; MemoryBound: 0
; FloatMode: 240
; IeeeMode: 1
; LDSByteSize: 12288 bytes/workgroup (compile time only)
; SGPRBlocks: 5
; VGPRBlocks: 3
; NumSGPRsForWavesPerEU: 48
; NumVGPRsForWavesPerEU: 28
; AccumOffset: 28
; Occupancy: 8
; WaveLimiterHint : 1
; COMPUTE_PGM_RSRC2:SCRATCH_EN: 0
; COMPUTE_PGM_RSRC2:USER_SGPR: 2
; COMPUTE_PGM_RSRC2:TRAP_HANDLER: 0
; COMPUTE_PGM_RSRC2:TGID_X_EN: 1
; COMPUTE_PGM_RSRC2:TGID_Y_EN: 1
; COMPUTE_PGM_RSRC2:TGID_Z_EN: 0
; COMPUTE_PGM_RSRC2:TIDIG_COMP_CNT: 1
; COMPUTE_PGM_RSRC3_GFX90A:ACCUM_OFFSET: 6
; COMPUTE_PGM_RSRC3_GFX90A:TG_SPLIT: 0
	.section	.text._ZN9rocsparseL31bsrmm_large_blockdim_kernel_extILj8ELj8ELj2EllaaffEEvb20rocsparse_direction_T3_S2_llNS_24const_host_device_scalarIT7_EEPKT2_PKS2_PKT4_S2_PKT5_llS5_PT6_ll16rocsparse_order_21rocsparse_index_base_b,"axG",@progbits,_ZN9rocsparseL31bsrmm_large_blockdim_kernel_extILj8ELj8ELj2EllaaffEEvb20rocsparse_direction_T3_S2_llNS_24const_host_device_scalarIT7_EEPKT2_PKS2_PKT4_S2_PKT5_llS5_PT6_ll16rocsparse_order_21rocsparse_index_base_b,comdat
	.globl	_ZN9rocsparseL31bsrmm_large_blockdim_kernel_extILj8ELj8ELj2EllaaffEEvb20rocsparse_direction_T3_S2_llNS_24const_host_device_scalarIT7_EEPKT2_PKS2_PKT4_S2_PKT5_llS5_PT6_ll16rocsparse_order_21rocsparse_index_base_b ; -- Begin function _ZN9rocsparseL31bsrmm_large_blockdim_kernel_extILj8ELj8ELj2EllaaffEEvb20rocsparse_direction_T3_S2_llNS_24const_host_device_scalarIT7_EEPKT2_PKS2_PKT4_S2_PKT5_llS5_PT6_ll16rocsparse_order_21rocsparse_index_base_b
	.p2align	8
	.type	_ZN9rocsparseL31bsrmm_large_blockdim_kernel_extILj8ELj8ELj2EllaaffEEvb20rocsparse_direction_T3_S2_llNS_24const_host_device_scalarIT7_EEPKT2_PKS2_PKT4_S2_PKT5_llS5_PT6_ll16rocsparse_order_21rocsparse_index_base_b,@function
_ZN9rocsparseL31bsrmm_large_blockdim_kernel_extILj8ELj8ELj2EllaaffEEvb20rocsparse_direction_T3_S2_llNS_24const_host_device_scalarIT7_EEPKT2_PKS2_PKT4_S2_PKT5_llS5_PT6_ll16rocsparse_order_21rocsparse_index_base_b: ; @_ZN9rocsparseL31bsrmm_large_blockdim_kernel_extILj8ELj8ELj2EllaaffEEvb20rocsparse_direction_T3_S2_llNS_24const_host_device_scalarIT7_EEPKT2_PKS2_PKT4_S2_PKT5_llS5_PT6_ll16rocsparse_order_21rocsparse_index_base_b
; %bb.0:
	s_load_dwordx4 s[16:19], s[0:1], 0x88
	s_mov_b32 s6, s3
	s_waitcnt lgkmcnt(0)
	s_bitcmp1_b32 s18, 0
	s_load_dwordx2 s[18:19], s[0:1], 0x28
	s_load_dwordx2 s[28:29], s[0:1], 0x68
	s_cselect_b64 s[8:9], -1, 0
	s_xor_b64 s[4:5], s[8:9], -1
	s_and_b64 vcc, exec, s[8:9]
	s_cbranch_vccnz .LBB80_2
; %bb.1:
	s_waitcnt lgkmcnt(0)
	s_load_dword s18, s[18:19], 0x0
.LBB80_2:
	s_andn2_b64 vcc, exec, s[4:5]
	s_cbranch_vccnz .LBB80_4
; %bb.3:
	s_waitcnt lgkmcnt(0)
	s_load_dword s28, s[28:29], 0x0
.LBB80_4:
	s_waitcnt lgkmcnt(0)
	v_cmp_eq_f32_e64 s[4:5], s18, 0
	v_cmp_eq_f32_e64 s[8:9], s28, 1.0
	s_and_b64 s[4:5], s[4:5], s[8:9]
	s_and_b64 vcc, exec, s[4:5]
	s_cbranch_vccnz .LBB80_48
; %bb.5:
	s_load_dwordx4 s[12:15], s[0:1], 0x8
	s_load_dwordx2 s[8:9], s[0:1], 0x30
	s_ashr_i32 s3, s2, 31
	v_mov_b64_e32 v[2:3], s[2:3]
	s_mov_b64 s[34:35], 0
	s_waitcnt lgkmcnt(0)
	v_cmp_le_i64_e32 vcc, s[12:13], v[2:3]
	v_cmp_gt_i64_e64 s[4:5], s[12:13], v[2:3]
	s_mov_b64 s[36:37], 0
	s_cbranch_vccnz .LBB80_7
; %bb.6:
	s_lshl_b64 s[10:11], s[2:3], 3
	s_add_u32 s10, s8, s10
	s_addc_u32 s11, s9, s11
	s_load_dwordx2 s[10:11], s[10:11], 0x0
	s_waitcnt lgkmcnt(0)
	s_sub_u32 s36, s10, s17
	s_subb_u32 s37, s11, 0
.LBB80_7:
	s_andn2_b64 vcc, exec, s[4:5]
	s_cbranch_vccnz .LBB80_9
; %bb.8:
	s_lshl_b64 s[10:11], s[2:3], 3
	s_add_u32 s8, s8, s10
	s_addc_u32 s9, s9, s11
	s_load_dwordx2 s[8:9], s[8:9], 0x8
	s_waitcnt lgkmcnt(0)
	s_sub_u32 s34, s8, s17
	s_subb_u32 s35, s9, 0
.LBB80_9:
	s_load_dwordx2 s[30:31], s[0:1], 0x70
	s_load_dwordx2 s[38:39], s[0:1], 0x48
	v_bfe_u32 v10, v0, 10, 10
	v_lshl_add_u32 v4, s6, 4, v10
	v_mov_b32_e32 v5, 0
	v_and_b32_e32 v6, 0x3ff, v0
	v_mov_b64_e32 v[0:1], s[34:35]
	v_add_u32_e32 v2, 8, v4
	v_mov_b32_e32 v3, v5
	v_mov_b32_e32 v7, v5
	v_cmp_ge_i64_e32 vcc, s[36:37], v[0:1]
	s_waitcnt lgkmcnt(0)
	v_cmp_gt_i64_e64 s[6:7], s[38:39], v[6:7]
	v_cmp_gt_i64_e64 s[8:9], s[14:15], v[4:5]
	;; [unrolled: 1-line block ×3, first 2 shown]
	s_cbranch_vccnz .LBB80_27
; %bb.10:
	s_load_dwordx4 s[24:27], s[0:1], 0x38
	s_load_dwordx2 s[42:43], s[0:1], 0x0
	v_mov_b32_e32 v0, 0x200
	v_lshl_add_u32 v18, v10, 2, v0
	s_load_dwordx4 s[20:23], s[0:1], 0x50
	s_waitcnt lgkmcnt(0)
	v_mov_b64_e32 v[0:1], s[26:27]
	v_mad_u64_u32 v[12:13], s[26:27], s38, v10, v[0:1]
	v_mov_b32_e32 v14, v13
	v_mad_u64_u32 v[14:15], s[26:27], s39, v10, v[14:15]
	v_mov_b32_e32 v13, v14
	v_mad_u64_u32 v[0:1], s[26:27], s38, v6, v[0:1]
	v_lshl_add_u64 v[14:15], v[12:13], 0, v[6:7]
	v_mov_b32_e32 v12, v1
	v_mad_u64_u32 v[12:13], s[26:27], s39, v6, v[12:13]
	v_mov_b32_e32 v11, v5
	v_mov_b32_e32 v1, v12
	s_mul_i32 s3, s38, s39
	s_mul_hi_u32 s12, s38, s38
	v_cmp_gt_i64_e32 vcc, s[38:39], v[10:11]
	v_lshlrev_b32_e32 v20, 5, v10
	v_lshl_add_u64 v[0:1], v[0:1], 0, v[10:11]
	v_mad_u64_u32 v[10:11], s[26:27], s22, v4, 0
	s_add_i32 s12, s12, s3
	v_mov_b32_e32 v12, v11
	s_add_i32 s3, s12, s3
	s_and_b64 s[40:41], s[6:7], vcc
	v_mad_u64_u32 v[12:13], s[26:27], s23, v4, v[12:13]
	s_bitcmp1_b32 s42, 0
	v_mov_b32_e32 v11, v12
	v_mad_u64_u32 v[12:13], s[26:27], s22, v2, 0
	s_cselect_b64 s[12:13], -1, 0
	s_cmp_eq_u32 s43, 0
	v_mov_b32_e32 v16, v13
	v_lshlrev_b32_e32 v19, 2, v6
	s_cselect_b64 vcc, -1, 0
	v_lshlrev_b32_e32 v23, 5, v6
	v_cmp_gt_i64_e64 s[42:43], s[38:39], 0
	v_mad_u64_u32 v[16:17], s[26:27], s23, v2, v[16:17]
	s_mul_i32 s19, s38, s38
	v_lshl_add_u64 v[8:9], s[20:21], 0, v[6:7]
	v_mov_b32_e32 v13, v16
	s_and_b64 s[26:27], s[8:9], s[42:43]
	s_and_b64 s[42:43], s[10:11], s[42:43]
	v_cndmask_b32_e32 v15, v15, v1, vcc
	v_cndmask_b32_e32 v14, v14, v0, vcc
	v_add_u32_e32 v21, 0x200, v23
	v_add_u32_e32 v22, 0x100, v20
	v_mov_b32_e32 v0, v5
	v_mov_b32_e32 v1, v5
	v_add_u32_e32 v23, v18, v23
	v_add_u32_e32 v24, v19, v20
	s_branch .LBB80_13
.LBB80_11:                              ;   in Loop: Header=BB80_13 Depth=1
	s_or_b64 exec, exec, s[46:47]
.LBB80_12:                              ;   in Loop: Header=BB80_13 Depth=1
	s_or_b64 exec, exec, s[44:45]
	s_add_u32 s36, s36, 1
	s_addc_u32 s37, s37, 0
	v_mov_b64_e32 v[16:17], s[34:35]
	v_cmp_ge_i64_e32 vcc, s[36:37], v[16:17]
	; wave barrier
	s_cbranch_vccnz .LBB80_28
.LBB80_13:                              ; =>This Loop Header: Depth=1
                                        ;     Child Loop BB80_23 Depth 2
                                        ;     Child Loop BB80_26 Depth 2
	s_and_saveexec_b64 s[44:45], s[6:7]
	s_cbranch_execz .LBB80_18
; %bb.14:                               ;   in Loop: Header=BB80_13 Depth=1
	s_lshl_b64 s[46:47], s[36:37], 3
	s_add_u32 s46, s24, s46
	s_addc_u32 s47, s25, s47
	s_load_dwordx2 s[46:47], s[46:47], 0x0
	v_mov_b32_e32 v25, s38
	v_mov_b64_e32 v[18:19], s[20:21]
	s_waitcnt lgkmcnt(0)
	s_sub_u32 s29, s46, s17
	s_subb_u32 s33, s47, 0
	v_mad_u64_u32 v[16:17], s[46:47], s29, v25, v[6:7]
	s_mul_i32 s46, s29, s39
	s_mul_i32 s33, s33, s38
	s_add_i32 s33, s46, s33
	v_add_u32_e32 v17, s33, v17
	v_mul_lo_u32 v26, v17, s22
	v_mul_lo_u32 v27, v16, s23
	v_mad_u64_u32 v[16:17], s[46:47], v16, s22, v[18:19]
	v_mad_u64_u32 v[18:19], s[46:47], s29, v25, v[8:9]
	v_add3_u32 v17, v26, v17, v27
	v_add_u32_e32 v19, s33, v19
	s_and_saveexec_b64 s[46:47], s[8:9]
	s_cbranch_execz .LBB80_16
; %bb.15:                               ;   in Loop: Header=BB80_13 Depth=1
	v_lshl_add_u64 v[26:27], v[16:17], 0, v[4:5]
	v_lshl_add_u64 v[28:29], v[18:19], 0, v[10:11]
	v_cndmask_b32_e64 v27, v27, v29, s[12:13]
	v_cndmask_b32_e64 v26, v26, v28, s[12:13]
	global_load_sbyte v25, v[26:27], off
	s_waitcnt vmcnt(0)
	v_cvt_f32_i32_e32 v25, v25
	ds_write_b32 v24, v25
.LBB80_16:                              ;   in Loop: Header=BB80_13 Depth=1
	s_or_b64 exec, exec, s[46:47]
	s_and_b64 exec, exec, s[10:11]
	s_cbranch_execz .LBB80_18
; %bb.17:                               ;   in Loop: Header=BB80_13 Depth=1
	v_lshl_add_u64 v[18:19], v[18:19], 0, v[12:13]
	v_lshl_add_u64 v[16:17], v[16:17], 0, v[2:3]
	v_cndmask_b32_e64 v17, v17, v19, s[12:13]
	v_cndmask_b32_e64 v16, v16, v18, s[12:13]
	global_load_sbyte v16, v[16:17], off
	s_waitcnt vmcnt(0)
	v_cvt_f32_i32_e32 v16, v16
	ds_write_b32 v24, v16 offset:256
.LBB80_18:                              ;   in Loop: Header=BB80_13 Depth=1
	s_or_b64 exec, exec, s[44:45]
	s_and_saveexec_b64 s[44:45], s[40:41]
	s_cbranch_execz .LBB80_20
; %bb.19:                               ;   in Loop: Header=BB80_13 Depth=1
	s_mul_i32 s29, s3, s36
	s_mul_i32 s33, s19, s37
	v_mov_b32_e32 v16, s36
	s_add_i32 s33, s33, s29
	v_mad_u64_u32 v[16:17], s[46:47], s19, v16, v[14:15]
	v_add_u32_e32 v17, s33, v17
	global_load_sbyte v16, v[16:17], off
	s_waitcnt vmcnt(0)
	v_cvt_f32_i32_e32 v16, v16
	ds_write_b32 v23, v16
.LBB80_20:                              ;   in Loop: Header=BB80_13 Depth=1
	s_or_b64 exec, exec, s[44:45]
	s_waitcnt lgkmcnt(0)
	; wave barrier
	s_and_saveexec_b64 s[44:45], s[6:7]
	s_cbranch_execz .LBB80_12
; %bb.21:                               ;   in Loop: Header=BB80_13 Depth=1
	s_and_saveexec_b64 s[46:47], s[26:27]
	s_cbranch_execz .LBB80_24
; %bb.22:                               ;   in Loop: Header=BB80_13 Depth=1
	v_mov_b32_e32 v16, v21
	v_mov_b32_e32 v17, v20
	s_mov_b64 s[48:49], s[38:39]
.LBB80_23:                              ;   Parent Loop BB80_13 Depth=1
                                        ; =>  This Inner Loop Header: Depth=2
	ds_read_b32 v18, v16
	ds_read_b32 v19, v17
	s_add_u32 s48, s48, -1
	s_addc_u32 s49, s49, -1
	v_add_u32_e32 v17, 4, v17
	v_add_u32_e32 v16, 4, v16
	s_cmp_lg_u64 s[48:49], 0
	s_waitcnt lgkmcnt(0)
	v_fma_f32 v0, v18, v19, v0
	s_cbranch_scc1 .LBB80_23
.LBB80_24:                              ;   in Loop: Header=BB80_13 Depth=1
	s_or_b64 exec, exec, s[46:47]
	s_and_saveexec_b64 s[46:47], s[42:43]
	s_cbranch_execz .LBB80_11
; %bb.25:                               ;   in Loop: Header=BB80_13 Depth=1
	v_mov_b32_e32 v16, v21
	v_mov_b32_e32 v17, v22
	s_mov_b64 s[48:49], s[38:39]
.LBB80_26:                              ;   Parent Loop BB80_13 Depth=1
                                        ; =>  This Inner Loop Header: Depth=2
	ds_read_b32 v18, v16
	ds_read_b32 v19, v17
	s_add_u32 s48, s48, -1
	s_addc_u32 s49, s49, -1
	v_add_u32_e32 v17, 4, v17
	v_add_u32_e32 v16, 4, v16
	s_cmp_lg_u64 s[48:49], 0
	s_waitcnt lgkmcnt(0)
	v_fma_f32 v1, v18, v19, v1
	s_cbranch_scc1 .LBB80_26
	s_branch .LBB80_11
.LBB80_27:
	v_mov_b32_e32 v0, v5
	v_mov_b32_e32 v1, v5
.LBB80_28:
	s_and_b64 s[4:5], s[4:5], s[6:7]
	s_and_saveexec_b64 s[6:7], s[4:5]
	s_cbranch_execz .LBB80_48
; %bb.29:
	v_mov_b32_e32 v8, s2
	v_mad_u64_u32 v[6:7], s[4:5], s38, v8, v[6:7]
	s_mul_i32 s4, s39, s2
	s_load_dwordx2 s[2:3], s[0:1], 0x78
	v_add_u32_e32 v7, s4, v7
	s_cmp_lg_u32 s16, 1
	v_cmp_neq_f32_e64 s[0:1], s28, 0
	s_cselect_b64 s[4:5], -1, 0
	s_waitcnt lgkmcnt(0)
	v_mul_lo_u32 v10, s3, v6
	v_mul_lo_u32 v11, s2, v7
	v_mad_u64_u32 v[8:9], s[6:7], s2, v6, 0
	v_add3_u32 v9, v9, v11, v10
	v_lshl_add_u64 v[8:9], v[8:9], 2, s[30:31]
	v_lshl_add_u64 v[6:7], v[6:7], 2, s[30:31]
	v_cmp_gt_i64_e32 vcc, s[14:15], v[4:5]
	s_and_saveexec_b64 s[6:7], vcc
	s_cbranch_execz .LBB80_41
; %bb.30:
	s_mov_b64 s[8:9], -1
	s_and_b64 vcc, exec, s[0:1]
	s_cbranch_vccz .LBB80_36
; %bb.31:
	s_and_b64 vcc, exec, s[4:5]
	s_cbranch_vccz .LBB80_33
; %bb.32:
	v_lshl_add_u64 v[10:11], v[4:5], 2, v[8:9]
	global_load_dword v12, v[10:11], off
	v_mul_f32_e32 v13, s18, v0
	s_mov_b64 s[8:9], 0
	s_waitcnt vmcnt(0)
	v_fmac_f32_e32 v13, s28, v12
	global_store_dword v[10:11], v13, off
.LBB80_33:
	s_andn2_b64 vcc, exec, s[8:9]
	s_cbranch_vccnz .LBB80_35
; %bb.34:
	v_mad_u64_u32 v[10:11], s[8:9], s2, v4, 0
	v_mov_b32_e32 v12, v11
	v_mad_u64_u32 v[12:13], s[8:9], s3, v4, v[12:13]
	v_mov_b32_e32 v11, v12
	v_lshl_add_u64 v[10:11], v[10:11], 2, v[6:7]
	global_load_dword v12, v[10:11], off
	v_mul_f32_e32 v13, s18, v0
	s_waitcnt vmcnt(0)
	v_fmac_f32_e32 v13, s28, v12
	global_store_dword v[10:11], v13, off
.LBB80_35:
	s_mov_b64 s[8:9], 0
.LBB80_36:
	s_andn2_b64 vcc, exec, s[8:9]
	s_cbranch_vccnz .LBB80_41
; %bb.37:
	v_mul_f32_e32 v0, s18, v0
	s_mov_b64 s[8:9], -1
	s_and_b64 vcc, exec, s[4:5]
	s_cbranch_vccz .LBB80_39
; %bb.38:
	v_lshl_add_u64 v[10:11], v[4:5], 2, v[8:9]
	global_store_dword v[10:11], v0, off
	s_mov_b64 s[8:9], 0
.LBB80_39:
	s_andn2_b64 vcc, exec, s[8:9]
	s_cbranch_vccnz .LBB80_41
; %bb.40:
	v_mad_u64_u32 v[10:11], s[8:9], s2, v4, 0
	v_mov_b32_e32 v12, v11
	v_mad_u64_u32 v[4:5], s[8:9], s3, v4, v[12:13]
	v_mov_b32_e32 v11, v4
	v_lshl_add_u64 v[4:5], v[10:11], 2, v[6:7]
	global_store_dword v[4:5], v0, off
.LBB80_41:
	s_or_b64 exec, exec, s[6:7]
	v_cmp_gt_i64_e32 vcc, s[14:15], v[2:3]
	s_and_b64 exec, exec, vcc
	s_cbranch_execz .LBB80_48
; %bb.42:
	v_cndmask_b32_e64 v0, 0, 1, s[4:5]
	s_andn2_b64 vcc, exec, s[0:1]
	v_cmp_ne_u32_e64 s[0:1], 1, v0
	s_cbranch_vccnz .LBB80_49
; %bb.43:
	s_and_b64 vcc, exec, s[0:1]
	s_mov_b64 s[4:5], -1
	s_cbranch_vccnz .LBB80_45
; %bb.44:
	v_lshl_add_u64 v[4:5], v[2:3], 2, v[8:9]
	global_load_dword v0, v[4:5], off
	v_mul_f32_e32 v10, s18, v1
	s_mov_b64 s[4:5], 0
	s_waitcnt vmcnt(0)
	v_fmac_f32_e32 v10, s28, v0
	global_store_dword v[4:5], v10, off
.LBB80_45:
	s_andn2_b64 vcc, exec, s[4:5]
	s_cbranch_vccnz .LBB80_47
; %bb.46:
	v_mad_u64_u32 v[4:5], s[4:5], s2, v2, 0
	v_mov_b32_e32 v0, v5
	v_mad_u64_u32 v[10:11], s[4:5], s3, v2, v[0:1]
	v_mov_b32_e32 v5, v10
	v_lshl_add_u64 v[4:5], v[4:5], 2, v[6:7]
	global_load_dword v0, v[4:5], off
	v_mul_f32_e32 v10, s18, v1
	s_waitcnt vmcnt(0)
	v_fmac_f32_e32 v10, s28, v0
	global_store_dword v[4:5], v10, off
.LBB80_47:
	s_cbranch_execz .LBB80_50
.LBB80_48:
	s_endpgm
.LBB80_49:
.LBB80_50:
	v_mul_f32_e32 v0, s18, v1
	s_and_b64 vcc, exec, s[0:1]
	s_mov_b64 s[0:1], -1
	s_cbranch_vccnz .LBB80_52
; %bb.51:
	v_lshl_add_u64 v[4:5], v[2:3], 2, v[8:9]
	s_mov_b64 s[0:1], 0
	global_store_dword v[4:5], v0, off
.LBB80_52:
	s_andn2_b64 vcc, exec, s[0:1]
	s_cbranch_vccnz .LBB80_48
; %bb.53:
	v_mad_u64_u32 v[4:5], s[0:1], s2, v2, 0
	v_mov_b32_e32 v8, v5
	v_mad_u64_u32 v[2:3], s[0:1], s3, v2, v[8:9]
	v_mov_b32_e32 v5, v2
	v_lshl_add_u64 v[2:3], v[4:5], 2, v[6:7]
	global_store_dword v[2:3], v0, off
	s_endpgm
	.section	.rodata,"a",@progbits
	.p2align	6, 0x0
	.amdhsa_kernel _ZN9rocsparseL31bsrmm_large_blockdim_kernel_extILj8ELj8ELj2EllaaffEEvb20rocsparse_direction_T3_S2_llNS_24const_host_device_scalarIT7_EEPKT2_PKS2_PKT4_S2_PKT5_llS5_PT6_ll16rocsparse_order_21rocsparse_index_base_b
		.amdhsa_group_segment_fixed_size 768
		.amdhsa_private_segment_fixed_size 0
		.amdhsa_kernarg_size 148
		.amdhsa_user_sgpr_count 2
		.amdhsa_user_sgpr_dispatch_ptr 0
		.amdhsa_user_sgpr_queue_ptr 0
		.amdhsa_user_sgpr_kernarg_segment_ptr 1
		.amdhsa_user_sgpr_dispatch_id 0
		.amdhsa_user_sgpr_kernarg_preload_length 0
		.amdhsa_user_sgpr_kernarg_preload_offset 0
		.amdhsa_user_sgpr_private_segment_size 0
		.amdhsa_uses_dynamic_stack 0
		.amdhsa_enable_private_segment 0
		.amdhsa_system_sgpr_workgroup_id_x 1
		.amdhsa_system_sgpr_workgroup_id_y 1
		.amdhsa_system_sgpr_workgroup_id_z 0
		.amdhsa_system_sgpr_workgroup_info 0
		.amdhsa_system_vgpr_workitem_id 1
		.amdhsa_next_free_vgpr 30
		.amdhsa_next_free_sgpr 50
		.amdhsa_accum_offset 32
		.amdhsa_reserve_vcc 1
		.amdhsa_float_round_mode_32 0
		.amdhsa_float_round_mode_16_64 0
		.amdhsa_float_denorm_mode_32 3
		.amdhsa_float_denorm_mode_16_64 3
		.amdhsa_dx10_clamp 1
		.amdhsa_ieee_mode 1
		.amdhsa_fp16_overflow 0
		.amdhsa_tg_split 0
		.amdhsa_exception_fp_ieee_invalid_op 0
		.amdhsa_exception_fp_denorm_src 0
		.amdhsa_exception_fp_ieee_div_zero 0
		.amdhsa_exception_fp_ieee_overflow 0
		.amdhsa_exception_fp_ieee_underflow 0
		.amdhsa_exception_fp_ieee_inexact 0
		.amdhsa_exception_int_div_zero 0
	.end_amdhsa_kernel
	.section	.text._ZN9rocsparseL31bsrmm_large_blockdim_kernel_extILj8ELj8ELj2EllaaffEEvb20rocsparse_direction_T3_S2_llNS_24const_host_device_scalarIT7_EEPKT2_PKS2_PKT4_S2_PKT5_llS5_PT6_ll16rocsparse_order_21rocsparse_index_base_b,"axG",@progbits,_ZN9rocsparseL31bsrmm_large_blockdim_kernel_extILj8ELj8ELj2EllaaffEEvb20rocsparse_direction_T3_S2_llNS_24const_host_device_scalarIT7_EEPKT2_PKS2_PKT4_S2_PKT5_llS5_PT6_ll16rocsparse_order_21rocsparse_index_base_b,comdat
.Lfunc_end80:
	.size	_ZN9rocsparseL31bsrmm_large_blockdim_kernel_extILj8ELj8ELj2EllaaffEEvb20rocsparse_direction_T3_S2_llNS_24const_host_device_scalarIT7_EEPKT2_PKS2_PKT4_S2_PKT5_llS5_PT6_ll16rocsparse_order_21rocsparse_index_base_b, .Lfunc_end80-_ZN9rocsparseL31bsrmm_large_blockdim_kernel_extILj8ELj8ELj2EllaaffEEvb20rocsparse_direction_T3_S2_llNS_24const_host_device_scalarIT7_EEPKT2_PKS2_PKT4_S2_PKT5_llS5_PT6_ll16rocsparse_order_21rocsparse_index_base_b
                                        ; -- End function
	.set _ZN9rocsparseL31bsrmm_large_blockdim_kernel_extILj8ELj8ELj2EllaaffEEvb20rocsparse_direction_T3_S2_llNS_24const_host_device_scalarIT7_EEPKT2_PKS2_PKT4_S2_PKT5_llS5_PT6_ll16rocsparse_order_21rocsparse_index_base_b.num_vgpr, 30
	.set _ZN9rocsparseL31bsrmm_large_blockdim_kernel_extILj8ELj8ELj2EllaaffEEvb20rocsparse_direction_T3_S2_llNS_24const_host_device_scalarIT7_EEPKT2_PKS2_PKT4_S2_PKT5_llS5_PT6_ll16rocsparse_order_21rocsparse_index_base_b.num_agpr, 0
	.set _ZN9rocsparseL31bsrmm_large_blockdim_kernel_extILj8ELj8ELj2EllaaffEEvb20rocsparse_direction_T3_S2_llNS_24const_host_device_scalarIT7_EEPKT2_PKS2_PKT4_S2_PKT5_llS5_PT6_ll16rocsparse_order_21rocsparse_index_base_b.numbered_sgpr, 50
	.set _ZN9rocsparseL31bsrmm_large_blockdim_kernel_extILj8ELj8ELj2EllaaffEEvb20rocsparse_direction_T3_S2_llNS_24const_host_device_scalarIT7_EEPKT2_PKS2_PKT4_S2_PKT5_llS5_PT6_ll16rocsparse_order_21rocsparse_index_base_b.num_named_barrier, 0
	.set _ZN9rocsparseL31bsrmm_large_blockdim_kernel_extILj8ELj8ELj2EllaaffEEvb20rocsparse_direction_T3_S2_llNS_24const_host_device_scalarIT7_EEPKT2_PKS2_PKT4_S2_PKT5_llS5_PT6_ll16rocsparse_order_21rocsparse_index_base_b.private_seg_size, 0
	.set _ZN9rocsparseL31bsrmm_large_blockdim_kernel_extILj8ELj8ELj2EllaaffEEvb20rocsparse_direction_T3_S2_llNS_24const_host_device_scalarIT7_EEPKT2_PKS2_PKT4_S2_PKT5_llS5_PT6_ll16rocsparse_order_21rocsparse_index_base_b.uses_vcc, 1
	.set _ZN9rocsparseL31bsrmm_large_blockdim_kernel_extILj8ELj8ELj2EllaaffEEvb20rocsparse_direction_T3_S2_llNS_24const_host_device_scalarIT7_EEPKT2_PKS2_PKT4_S2_PKT5_llS5_PT6_ll16rocsparse_order_21rocsparse_index_base_b.uses_flat_scratch, 0
	.set _ZN9rocsparseL31bsrmm_large_blockdim_kernel_extILj8ELj8ELj2EllaaffEEvb20rocsparse_direction_T3_S2_llNS_24const_host_device_scalarIT7_EEPKT2_PKS2_PKT4_S2_PKT5_llS5_PT6_ll16rocsparse_order_21rocsparse_index_base_b.has_dyn_sized_stack, 0
	.set _ZN9rocsparseL31bsrmm_large_blockdim_kernel_extILj8ELj8ELj2EllaaffEEvb20rocsparse_direction_T3_S2_llNS_24const_host_device_scalarIT7_EEPKT2_PKS2_PKT4_S2_PKT5_llS5_PT6_ll16rocsparse_order_21rocsparse_index_base_b.has_recursion, 0
	.set _ZN9rocsparseL31bsrmm_large_blockdim_kernel_extILj8ELj8ELj2EllaaffEEvb20rocsparse_direction_T3_S2_llNS_24const_host_device_scalarIT7_EEPKT2_PKS2_PKT4_S2_PKT5_llS5_PT6_ll16rocsparse_order_21rocsparse_index_base_b.has_indirect_call, 0
	.section	.AMDGPU.csdata,"",@progbits
; Kernel info:
; codeLenInByte = 1740
; TotalNumSgprs: 56
; NumVgprs: 30
; NumAgprs: 0
; TotalNumVgprs: 30
; ScratchSize: 0
; MemoryBound: 0
; FloatMode: 240
; IeeeMode: 1
; LDSByteSize: 768 bytes/workgroup (compile time only)
; SGPRBlocks: 6
; VGPRBlocks: 3
; NumSGPRsForWavesPerEU: 56
; NumVGPRsForWavesPerEU: 30
; AccumOffset: 32
; Occupancy: 8
; WaveLimiterHint : 1
; COMPUTE_PGM_RSRC2:SCRATCH_EN: 0
; COMPUTE_PGM_RSRC2:USER_SGPR: 2
; COMPUTE_PGM_RSRC2:TRAP_HANDLER: 0
; COMPUTE_PGM_RSRC2:TGID_X_EN: 1
; COMPUTE_PGM_RSRC2:TGID_Y_EN: 1
; COMPUTE_PGM_RSRC2:TGID_Z_EN: 0
; COMPUTE_PGM_RSRC2:TIDIG_COMP_CNT: 1
; COMPUTE_PGM_RSRC3_GFX90A:ACCUM_OFFSET: 7
; COMPUTE_PGM_RSRC3_GFX90A:TG_SPLIT: 0
	.section	.text._ZN9rocsparseL31bsrmm_large_blockdim_kernel_extILj4ELj16ELj2EllaaffEEvb20rocsparse_direction_T3_S2_llNS_24const_host_device_scalarIT7_EEPKT2_PKS2_PKT4_S2_PKT5_llS5_PT6_ll16rocsparse_order_21rocsparse_index_base_b,"axG",@progbits,_ZN9rocsparseL31bsrmm_large_blockdim_kernel_extILj4ELj16ELj2EllaaffEEvb20rocsparse_direction_T3_S2_llNS_24const_host_device_scalarIT7_EEPKT2_PKS2_PKT4_S2_PKT5_llS5_PT6_ll16rocsparse_order_21rocsparse_index_base_b,comdat
	.globl	_ZN9rocsparseL31bsrmm_large_blockdim_kernel_extILj4ELj16ELj2EllaaffEEvb20rocsparse_direction_T3_S2_llNS_24const_host_device_scalarIT7_EEPKT2_PKS2_PKT4_S2_PKT5_llS5_PT6_ll16rocsparse_order_21rocsparse_index_base_b ; -- Begin function _ZN9rocsparseL31bsrmm_large_blockdim_kernel_extILj4ELj16ELj2EllaaffEEvb20rocsparse_direction_T3_S2_llNS_24const_host_device_scalarIT7_EEPKT2_PKS2_PKT4_S2_PKT5_llS5_PT6_ll16rocsparse_order_21rocsparse_index_base_b
	.p2align	8
	.type	_ZN9rocsparseL31bsrmm_large_blockdim_kernel_extILj4ELj16ELj2EllaaffEEvb20rocsparse_direction_T3_S2_llNS_24const_host_device_scalarIT7_EEPKT2_PKS2_PKT4_S2_PKT5_llS5_PT6_ll16rocsparse_order_21rocsparse_index_base_b,@function
_ZN9rocsparseL31bsrmm_large_blockdim_kernel_extILj4ELj16ELj2EllaaffEEvb20rocsparse_direction_T3_S2_llNS_24const_host_device_scalarIT7_EEPKT2_PKS2_PKT4_S2_PKT5_llS5_PT6_ll16rocsparse_order_21rocsparse_index_base_b: ; @_ZN9rocsparseL31bsrmm_large_blockdim_kernel_extILj4ELj16ELj2EllaaffEEvb20rocsparse_direction_T3_S2_llNS_24const_host_device_scalarIT7_EEPKT2_PKS2_PKT4_S2_PKT5_llS5_PT6_ll16rocsparse_order_21rocsparse_index_base_b
; %bb.0:
	s_load_dwordx4 s[16:19], s[0:1], 0x88
	s_mov_b32 s6, s3
	s_waitcnt lgkmcnt(0)
	s_bitcmp1_b32 s18, 0
	s_load_dwordx2 s[18:19], s[0:1], 0x28
	s_load_dwordx2 s[28:29], s[0:1], 0x68
	s_cselect_b64 s[8:9], -1, 0
	s_xor_b64 s[4:5], s[8:9], -1
	s_and_b64 vcc, exec, s[8:9]
	s_cbranch_vccnz .LBB81_2
; %bb.1:
	s_waitcnt lgkmcnt(0)
	s_load_dword s18, s[18:19], 0x0
.LBB81_2:
	s_andn2_b64 vcc, exec, s[4:5]
	s_cbranch_vccnz .LBB81_4
; %bb.3:
	s_waitcnt lgkmcnt(0)
	s_load_dword s28, s[28:29], 0x0
.LBB81_4:
	s_waitcnt lgkmcnt(0)
	v_cmp_eq_f32_e64 s[4:5], s18, 0
	v_cmp_eq_f32_e64 s[8:9], s28, 1.0
	s_and_b64 s[4:5], s[4:5], s[8:9]
	s_and_b64 vcc, exec, s[4:5]
	s_cbranch_vccnz .LBB81_48
; %bb.5:
	s_load_dwordx4 s[12:15], s[0:1], 0x8
	s_load_dwordx2 s[8:9], s[0:1], 0x30
	s_ashr_i32 s3, s2, 31
	v_mov_b64_e32 v[2:3], s[2:3]
	s_mov_b64 s[34:35], 0
	s_waitcnt lgkmcnt(0)
	v_cmp_le_i64_e32 vcc, s[12:13], v[2:3]
	v_cmp_gt_i64_e64 s[4:5], s[12:13], v[2:3]
	s_mov_b64 s[36:37], 0
	s_cbranch_vccnz .LBB81_7
; %bb.6:
	s_lshl_b64 s[10:11], s[2:3], 3
	s_add_u32 s10, s8, s10
	s_addc_u32 s11, s9, s11
	s_load_dwordx2 s[10:11], s[10:11], 0x0
	s_waitcnt lgkmcnt(0)
	s_sub_u32 s36, s10, s17
	s_subb_u32 s37, s11, 0
.LBB81_7:
	s_andn2_b64 vcc, exec, s[4:5]
	s_cbranch_vccnz .LBB81_9
; %bb.8:
	s_lshl_b64 s[10:11], s[2:3], 3
	s_add_u32 s8, s8, s10
	s_addc_u32 s9, s9, s11
	s_load_dwordx2 s[8:9], s[8:9], 0x8
	s_waitcnt lgkmcnt(0)
	s_sub_u32 s34, s8, s17
	s_subb_u32 s35, s9, 0
.LBB81_9:
	s_load_dwordx2 s[30:31], s[0:1], 0x70
	s_load_dwordx2 s[38:39], s[0:1], 0x48
	v_bfe_u32 v10, v0, 10, 10
	v_lshl_add_u32 v4, s6, 5, v10
	v_mov_b32_e32 v5, 0
	v_and_b32_e32 v6, 0x3ff, v0
	v_mov_b64_e32 v[0:1], s[34:35]
	v_add_u32_e32 v2, 16, v4
	v_mov_b32_e32 v3, v5
	v_mov_b32_e32 v7, v5
	v_cmp_ge_i64_e32 vcc, s[36:37], v[0:1]
	s_waitcnt lgkmcnt(0)
	v_cmp_gt_i64_e64 s[6:7], s[38:39], v[6:7]
	v_cmp_gt_i64_e64 s[8:9], s[14:15], v[4:5]
	;; [unrolled: 1-line block ×3, first 2 shown]
	s_cbranch_vccnz .LBB81_27
; %bb.10:
	s_load_dwordx4 s[24:27], s[0:1], 0x38
	s_load_dwordx2 s[42:43], s[0:1], 0x0
	v_mov_b32_e32 v0, 0x200
	v_lshl_add_u32 v18, v10, 2, v0
	s_load_dwordx4 s[20:23], s[0:1], 0x50
	s_waitcnt lgkmcnt(0)
	v_mov_b64_e32 v[0:1], s[26:27]
	v_mad_u64_u32 v[12:13], s[26:27], s38, v10, v[0:1]
	v_mov_b32_e32 v14, v13
	v_mad_u64_u32 v[14:15], s[26:27], s39, v10, v[14:15]
	v_mov_b32_e32 v13, v14
	v_mad_u64_u32 v[0:1], s[26:27], s38, v6, v[0:1]
	v_lshl_add_u64 v[14:15], v[12:13], 0, v[6:7]
	v_mov_b32_e32 v12, v1
	v_mad_u64_u32 v[12:13], s[26:27], s39, v6, v[12:13]
	v_mov_b32_e32 v11, v5
	v_mov_b32_e32 v1, v12
	s_mul_i32 s3, s38, s39
	s_mul_hi_u32 s12, s38, s38
	v_cmp_gt_i64_e32 vcc, s[38:39], v[10:11]
	v_lshlrev_b32_e32 v20, 4, v10
	v_lshl_add_u64 v[0:1], v[0:1], 0, v[10:11]
	v_mad_u64_u32 v[10:11], s[26:27], s22, v4, 0
	s_add_i32 s12, s12, s3
	v_mov_b32_e32 v12, v11
	s_add_i32 s3, s12, s3
	s_and_b64 s[40:41], s[6:7], vcc
	v_mad_u64_u32 v[12:13], s[26:27], s23, v4, v[12:13]
	s_bitcmp1_b32 s42, 0
	v_mov_b32_e32 v11, v12
	v_mad_u64_u32 v[12:13], s[26:27], s22, v2, 0
	s_cselect_b64 s[12:13], -1, 0
	s_cmp_eq_u32 s43, 0
	v_mov_b32_e32 v16, v13
	v_lshlrev_b32_e32 v19, 2, v6
	s_cselect_b64 vcc, -1, 0
	v_lshlrev_b32_e32 v23, 4, v6
	v_cmp_gt_i64_e64 s[42:43], s[38:39], 0
	v_mad_u64_u32 v[16:17], s[26:27], s23, v2, v[16:17]
	s_mul_i32 s19, s38, s38
	v_lshl_add_u64 v[8:9], s[20:21], 0, v[6:7]
	v_mov_b32_e32 v13, v16
	s_and_b64 s[26:27], s[8:9], s[42:43]
	s_and_b64 s[42:43], s[10:11], s[42:43]
	v_cndmask_b32_e32 v15, v15, v1, vcc
	v_cndmask_b32_e32 v14, v14, v0, vcc
	v_add_u32_e32 v21, 0x200, v23
	v_add_u32_e32 v22, 0x100, v20
	v_mov_b32_e32 v0, v5
	v_mov_b32_e32 v1, v5
	v_add_u32_e32 v23, v18, v23
	v_add_u32_e32 v24, v19, v20
	s_branch .LBB81_13
.LBB81_11:                              ;   in Loop: Header=BB81_13 Depth=1
	s_or_b64 exec, exec, s[46:47]
.LBB81_12:                              ;   in Loop: Header=BB81_13 Depth=1
	s_or_b64 exec, exec, s[44:45]
	s_add_u32 s36, s36, 1
	s_addc_u32 s37, s37, 0
	v_mov_b64_e32 v[16:17], s[34:35]
	v_cmp_ge_i64_e32 vcc, s[36:37], v[16:17]
	; wave barrier
	s_cbranch_vccnz .LBB81_28
.LBB81_13:                              ; =>This Loop Header: Depth=1
                                        ;     Child Loop BB81_23 Depth 2
                                        ;     Child Loop BB81_26 Depth 2
	s_and_saveexec_b64 s[44:45], s[6:7]
	s_cbranch_execz .LBB81_18
; %bb.14:                               ;   in Loop: Header=BB81_13 Depth=1
	s_lshl_b64 s[46:47], s[36:37], 3
	s_add_u32 s46, s24, s46
	s_addc_u32 s47, s25, s47
	s_load_dwordx2 s[46:47], s[46:47], 0x0
	v_mov_b32_e32 v25, s38
	v_mov_b64_e32 v[18:19], s[20:21]
	s_waitcnt lgkmcnt(0)
	s_sub_u32 s29, s46, s17
	s_subb_u32 s33, s47, 0
	v_mad_u64_u32 v[16:17], s[46:47], s29, v25, v[6:7]
	s_mul_i32 s46, s29, s39
	s_mul_i32 s33, s33, s38
	s_add_i32 s33, s46, s33
	v_add_u32_e32 v17, s33, v17
	v_mul_lo_u32 v26, v17, s22
	v_mul_lo_u32 v27, v16, s23
	v_mad_u64_u32 v[16:17], s[46:47], v16, s22, v[18:19]
	v_mad_u64_u32 v[18:19], s[46:47], s29, v25, v[8:9]
	v_add3_u32 v17, v26, v17, v27
	v_add_u32_e32 v19, s33, v19
	s_and_saveexec_b64 s[46:47], s[8:9]
	s_cbranch_execz .LBB81_16
; %bb.15:                               ;   in Loop: Header=BB81_13 Depth=1
	v_lshl_add_u64 v[26:27], v[16:17], 0, v[4:5]
	v_lshl_add_u64 v[28:29], v[18:19], 0, v[10:11]
	v_cndmask_b32_e64 v27, v27, v29, s[12:13]
	v_cndmask_b32_e64 v26, v26, v28, s[12:13]
	global_load_sbyte v25, v[26:27], off
	s_waitcnt vmcnt(0)
	v_cvt_f32_i32_e32 v25, v25
	ds_write_b32 v24, v25
.LBB81_16:                              ;   in Loop: Header=BB81_13 Depth=1
	s_or_b64 exec, exec, s[46:47]
	s_and_b64 exec, exec, s[10:11]
	s_cbranch_execz .LBB81_18
; %bb.17:                               ;   in Loop: Header=BB81_13 Depth=1
	v_lshl_add_u64 v[18:19], v[18:19], 0, v[12:13]
	v_lshl_add_u64 v[16:17], v[16:17], 0, v[2:3]
	v_cndmask_b32_e64 v17, v17, v19, s[12:13]
	v_cndmask_b32_e64 v16, v16, v18, s[12:13]
	global_load_sbyte v16, v[16:17], off
	s_waitcnt vmcnt(0)
	v_cvt_f32_i32_e32 v16, v16
	ds_write_b32 v24, v16 offset:256
.LBB81_18:                              ;   in Loop: Header=BB81_13 Depth=1
	s_or_b64 exec, exec, s[44:45]
	s_and_saveexec_b64 s[44:45], s[40:41]
	s_cbranch_execz .LBB81_20
; %bb.19:                               ;   in Loop: Header=BB81_13 Depth=1
	s_mul_i32 s29, s3, s36
	s_mul_i32 s33, s19, s37
	v_mov_b32_e32 v16, s36
	s_add_i32 s33, s33, s29
	v_mad_u64_u32 v[16:17], s[46:47], s19, v16, v[14:15]
	v_add_u32_e32 v17, s33, v17
	global_load_sbyte v16, v[16:17], off
	s_waitcnt vmcnt(0)
	v_cvt_f32_i32_e32 v16, v16
	ds_write_b32 v23, v16
.LBB81_20:                              ;   in Loop: Header=BB81_13 Depth=1
	s_or_b64 exec, exec, s[44:45]
	s_waitcnt lgkmcnt(0)
	; wave barrier
	s_and_saveexec_b64 s[44:45], s[6:7]
	s_cbranch_execz .LBB81_12
; %bb.21:                               ;   in Loop: Header=BB81_13 Depth=1
	s_and_saveexec_b64 s[46:47], s[26:27]
	s_cbranch_execz .LBB81_24
; %bb.22:                               ;   in Loop: Header=BB81_13 Depth=1
	v_mov_b32_e32 v16, v21
	v_mov_b32_e32 v17, v20
	s_mov_b64 s[48:49], s[38:39]
.LBB81_23:                              ;   Parent Loop BB81_13 Depth=1
                                        ; =>  This Inner Loop Header: Depth=2
	ds_read_b32 v18, v16
	ds_read_b32 v19, v17
	s_add_u32 s48, s48, -1
	s_addc_u32 s49, s49, -1
	v_add_u32_e32 v17, 4, v17
	v_add_u32_e32 v16, 4, v16
	s_cmp_lg_u64 s[48:49], 0
	s_waitcnt lgkmcnt(0)
	v_fma_f32 v0, v18, v19, v0
	s_cbranch_scc1 .LBB81_23
.LBB81_24:                              ;   in Loop: Header=BB81_13 Depth=1
	s_or_b64 exec, exec, s[46:47]
	s_and_saveexec_b64 s[46:47], s[42:43]
	s_cbranch_execz .LBB81_11
; %bb.25:                               ;   in Loop: Header=BB81_13 Depth=1
	v_mov_b32_e32 v16, v21
	v_mov_b32_e32 v17, v22
	s_mov_b64 s[48:49], s[38:39]
.LBB81_26:                              ;   Parent Loop BB81_13 Depth=1
                                        ; =>  This Inner Loop Header: Depth=2
	ds_read_b32 v18, v16
	ds_read_b32 v19, v17
	s_add_u32 s48, s48, -1
	s_addc_u32 s49, s49, -1
	v_add_u32_e32 v17, 4, v17
	v_add_u32_e32 v16, 4, v16
	s_cmp_lg_u64 s[48:49], 0
	s_waitcnt lgkmcnt(0)
	v_fma_f32 v1, v18, v19, v1
	s_cbranch_scc1 .LBB81_26
	s_branch .LBB81_11
.LBB81_27:
	v_mov_b32_e32 v0, v5
	v_mov_b32_e32 v1, v5
.LBB81_28:
	s_and_b64 s[4:5], s[4:5], s[6:7]
	s_and_saveexec_b64 s[6:7], s[4:5]
	s_cbranch_execz .LBB81_48
; %bb.29:
	v_mov_b32_e32 v8, s2
	v_mad_u64_u32 v[6:7], s[4:5], s38, v8, v[6:7]
	s_mul_i32 s4, s39, s2
	s_load_dwordx2 s[2:3], s[0:1], 0x78
	v_add_u32_e32 v7, s4, v7
	s_cmp_lg_u32 s16, 1
	v_cmp_neq_f32_e64 s[0:1], s28, 0
	s_cselect_b64 s[4:5], -1, 0
	s_waitcnt lgkmcnt(0)
	v_mul_lo_u32 v10, s3, v6
	v_mul_lo_u32 v11, s2, v7
	v_mad_u64_u32 v[8:9], s[6:7], s2, v6, 0
	v_add3_u32 v9, v9, v11, v10
	v_lshl_add_u64 v[8:9], v[8:9], 2, s[30:31]
	v_lshl_add_u64 v[6:7], v[6:7], 2, s[30:31]
	v_cmp_gt_i64_e32 vcc, s[14:15], v[4:5]
	s_and_saveexec_b64 s[6:7], vcc
	s_cbranch_execz .LBB81_41
; %bb.30:
	s_mov_b64 s[8:9], -1
	s_and_b64 vcc, exec, s[0:1]
	s_cbranch_vccz .LBB81_36
; %bb.31:
	s_and_b64 vcc, exec, s[4:5]
	s_cbranch_vccz .LBB81_33
; %bb.32:
	v_lshl_add_u64 v[10:11], v[4:5], 2, v[8:9]
	global_load_dword v12, v[10:11], off
	v_mul_f32_e32 v13, s18, v0
	s_mov_b64 s[8:9], 0
	s_waitcnt vmcnt(0)
	v_fmac_f32_e32 v13, s28, v12
	global_store_dword v[10:11], v13, off
.LBB81_33:
	s_andn2_b64 vcc, exec, s[8:9]
	s_cbranch_vccnz .LBB81_35
; %bb.34:
	v_mad_u64_u32 v[10:11], s[8:9], s2, v4, 0
	v_mov_b32_e32 v12, v11
	v_mad_u64_u32 v[12:13], s[8:9], s3, v4, v[12:13]
	v_mov_b32_e32 v11, v12
	v_lshl_add_u64 v[10:11], v[10:11], 2, v[6:7]
	global_load_dword v12, v[10:11], off
	v_mul_f32_e32 v13, s18, v0
	s_waitcnt vmcnt(0)
	v_fmac_f32_e32 v13, s28, v12
	global_store_dword v[10:11], v13, off
.LBB81_35:
	s_mov_b64 s[8:9], 0
.LBB81_36:
	s_andn2_b64 vcc, exec, s[8:9]
	s_cbranch_vccnz .LBB81_41
; %bb.37:
	v_mul_f32_e32 v0, s18, v0
	s_mov_b64 s[8:9], -1
	s_and_b64 vcc, exec, s[4:5]
	s_cbranch_vccz .LBB81_39
; %bb.38:
	v_lshl_add_u64 v[10:11], v[4:5], 2, v[8:9]
	global_store_dword v[10:11], v0, off
	s_mov_b64 s[8:9], 0
.LBB81_39:
	s_andn2_b64 vcc, exec, s[8:9]
	s_cbranch_vccnz .LBB81_41
; %bb.40:
	v_mad_u64_u32 v[10:11], s[8:9], s2, v4, 0
	v_mov_b32_e32 v12, v11
	v_mad_u64_u32 v[4:5], s[8:9], s3, v4, v[12:13]
	v_mov_b32_e32 v11, v4
	v_lshl_add_u64 v[4:5], v[10:11], 2, v[6:7]
	global_store_dword v[4:5], v0, off
.LBB81_41:
	s_or_b64 exec, exec, s[6:7]
	v_cmp_gt_i64_e32 vcc, s[14:15], v[2:3]
	s_and_b64 exec, exec, vcc
	s_cbranch_execz .LBB81_48
; %bb.42:
	v_cndmask_b32_e64 v0, 0, 1, s[4:5]
	s_andn2_b64 vcc, exec, s[0:1]
	v_cmp_ne_u32_e64 s[0:1], 1, v0
	s_cbranch_vccnz .LBB81_49
; %bb.43:
	s_and_b64 vcc, exec, s[0:1]
	s_mov_b64 s[4:5], -1
	s_cbranch_vccnz .LBB81_45
; %bb.44:
	v_lshl_add_u64 v[4:5], v[2:3], 2, v[8:9]
	global_load_dword v0, v[4:5], off
	v_mul_f32_e32 v10, s18, v1
	s_mov_b64 s[4:5], 0
	s_waitcnt vmcnt(0)
	v_fmac_f32_e32 v10, s28, v0
	global_store_dword v[4:5], v10, off
.LBB81_45:
	s_andn2_b64 vcc, exec, s[4:5]
	s_cbranch_vccnz .LBB81_47
; %bb.46:
	v_mad_u64_u32 v[4:5], s[4:5], s2, v2, 0
	v_mov_b32_e32 v0, v5
	v_mad_u64_u32 v[10:11], s[4:5], s3, v2, v[0:1]
	v_mov_b32_e32 v5, v10
	v_lshl_add_u64 v[4:5], v[4:5], 2, v[6:7]
	global_load_dword v0, v[4:5], off
	v_mul_f32_e32 v10, s18, v1
	s_waitcnt vmcnt(0)
	v_fmac_f32_e32 v10, s28, v0
	global_store_dword v[4:5], v10, off
.LBB81_47:
	s_cbranch_execz .LBB81_50
.LBB81_48:
	s_endpgm
.LBB81_49:
.LBB81_50:
	v_mul_f32_e32 v0, s18, v1
	s_and_b64 vcc, exec, s[0:1]
	s_mov_b64 s[0:1], -1
	s_cbranch_vccnz .LBB81_52
; %bb.51:
	v_lshl_add_u64 v[4:5], v[2:3], 2, v[8:9]
	s_mov_b64 s[0:1], 0
	global_store_dword v[4:5], v0, off
.LBB81_52:
	s_andn2_b64 vcc, exec, s[0:1]
	s_cbranch_vccnz .LBB81_48
; %bb.53:
	v_mad_u64_u32 v[4:5], s[0:1], s2, v2, 0
	v_mov_b32_e32 v8, v5
	v_mad_u64_u32 v[2:3], s[0:1], s3, v2, v[8:9]
	v_mov_b32_e32 v5, v2
	v_lshl_add_u64 v[2:3], v[4:5], 2, v[6:7]
	global_store_dword v[2:3], v0, off
	s_endpgm
	.section	.rodata,"a",@progbits
	.p2align	6, 0x0
	.amdhsa_kernel _ZN9rocsparseL31bsrmm_large_blockdim_kernel_extILj4ELj16ELj2EllaaffEEvb20rocsparse_direction_T3_S2_llNS_24const_host_device_scalarIT7_EEPKT2_PKS2_PKT4_S2_PKT5_llS5_PT6_ll16rocsparse_order_21rocsparse_index_base_b
		.amdhsa_group_segment_fixed_size 576
		.amdhsa_private_segment_fixed_size 0
		.amdhsa_kernarg_size 148
		.amdhsa_user_sgpr_count 2
		.amdhsa_user_sgpr_dispatch_ptr 0
		.amdhsa_user_sgpr_queue_ptr 0
		.amdhsa_user_sgpr_kernarg_segment_ptr 1
		.amdhsa_user_sgpr_dispatch_id 0
		.amdhsa_user_sgpr_kernarg_preload_length 0
		.amdhsa_user_sgpr_kernarg_preload_offset 0
		.amdhsa_user_sgpr_private_segment_size 0
		.amdhsa_uses_dynamic_stack 0
		.amdhsa_enable_private_segment 0
		.amdhsa_system_sgpr_workgroup_id_x 1
		.amdhsa_system_sgpr_workgroup_id_y 1
		.amdhsa_system_sgpr_workgroup_id_z 0
		.amdhsa_system_sgpr_workgroup_info 0
		.amdhsa_system_vgpr_workitem_id 1
		.amdhsa_next_free_vgpr 30
		.amdhsa_next_free_sgpr 50
		.amdhsa_accum_offset 32
		.amdhsa_reserve_vcc 1
		.amdhsa_float_round_mode_32 0
		.amdhsa_float_round_mode_16_64 0
		.amdhsa_float_denorm_mode_32 3
		.amdhsa_float_denorm_mode_16_64 3
		.amdhsa_dx10_clamp 1
		.amdhsa_ieee_mode 1
		.amdhsa_fp16_overflow 0
		.amdhsa_tg_split 0
		.amdhsa_exception_fp_ieee_invalid_op 0
		.amdhsa_exception_fp_denorm_src 0
		.amdhsa_exception_fp_ieee_div_zero 0
		.amdhsa_exception_fp_ieee_overflow 0
		.amdhsa_exception_fp_ieee_underflow 0
		.amdhsa_exception_fp_ieee_inexact 0
		.amdhsa_exception_int_div_zero 0
	.end_amdhsa_kernel
	.section	.text._ZN9rocsparseL31bsrmm_large_blockdim_kernel_extILj4ELj16ELj2EllaaffEEvb20rocsparse_direction_T3_S2_llNS_24const_host_device_scalarIT7_EEPKT2_PKS2_PKT4_S2_PKT5_llS5_PT6_ll16rocsparse_order_21rocsparse_index_base_b,"axG",@progbits,_ZN9rocsparseL31bsrmm_large_blockdim_kernel_extILj4ELj16ELj2EllaaffEEvb20rocsparse_direction_T3_S2_llNS_24const_host_device_scalarIT7_EEPKT2_PKS2_PKT4_S2_PKT5_llS5_PT6_ll16rocsparse_order_21rocsparse_index_base_b,comdat
.Lfunc_end81:
	.size	_ZN9rocsparseL31bsrmm_large_blockdim_kernel_extILj4ELj16ELj2EllaaffEEvb20rocsparse_direction_T3_S2_llNS_24const_host_device_scalarIT7_EEPKT2_PKS2_PKT4_S2_PKT5_llS5_PT6_ll16rocsparse_order_21rocsparse_index_base_b, .Lfunc_end81-_ZN9rocsparseL31bsrmm_large_blockdim_kernel_extILj4ELj16ELj2EllaaffEEvb20rocsparse_direction_T3_S2_llNS_24const_host_device_scalarIT7_EEPKT2_PKS2_PKT4_S2_PKT5_llS5_PT6_ll16rocsparse_order_21rocsparse_index_base_b
                                        ; -- End function
	.set _ZN9rocsparseL31bsrmm_large_blockdim_kernel_extILj4ELj16ELj2EllaaffEEvb20rocsparse_direction_T3_S2_llNS_24const_host_device_scalarIT7_EEPKT2_PKS2_PKT4_S2_PKT5_llS5_PT6_ll16rocsparse_order_21rocsparse_index_base_b.num_vgpr, 30
	.set _ZN9rocsparseL31bsrmm_large_blockdim_kernel_extILj4ELj16ELj2EllaaffEEvb20rocsparse_direction_T3_S2_llNS_24const_host_device_scalarIT7_EEPKT2_PKS2_PKT4_S2_PKT5_llS5_PT6_ll16rocsparse_order_21rocsparse_index_base_b.num_agpr, 0
	.set _ZN9rocsparseL31bsrmm_large_blockdim_kernel_extILj4ELj16ELj2EllaaffEEvb20rocsparse_direction_T3_S2_llNS_24const_host_device_scalarIT7_EEPKT2_PKS2_PKT4_S2_PKT5_llS5_PT6_ll16rocsparse_order_21rocsparse_index_base_b.numbered_sgpr, 50
	.set _ZN9rocsparseL31bsrmm_large_blockdim_kernel_extILj4ELj16ELj2EllaaffEEvb20rocsparse_direction_T3_S2_llNS_24const_host_device_scalarIT7_EEPKT2_PKS2_PKT4_S2_PKT5_llS5_PT6_ll16rocsparse_order_21rocsparse_index_base_b.num_named_barrier, 0
	.set _ZN9rocsparseL31bsrmm_large_blockdim_kernel_extILj4ELj16ELj2EllaaffEEvb20rocsparse_direction_T3_S2_llNS_24const_host_device_scalarIT7_EEPKT2_PKS2_PKT4_S2_PKT5_llS5_PT6_ll16rocsparse_order_21rocsparse_index_base_b.private_seg_size, 0
	.set _ZN9rocsparseL31bsrmm_large_blockdim_kernel_extILj4ELj16ELj2EllaaffEEvb20rocsparse_direction_T3_S2_llNS_24const_host_device_scalarIT7_EEPKT2_PKS2_PKT4_S2_PKT5_llS5_PT6_ll16rocsparse_order_21rocsparse_index_base_b.uses_vcc, 1
	.set _ZN9rocsparseL31bsrmm_large_blockdim_kernel_extILj4ELj16ELj2EllaaffEEvb20rocsparse_direction_T3_S2_llNS_24const_host_device_scalarIT7_EEPKT2_PKS2_PKT4_S2_PKT5_llS5_PT6_ll16rocsparse_order_21rocsparse_index_base_b.uses_flat_scratch, 0
	.set _ZN9rocsparseL31bsrmm_large_blockdim_kernel_extILj4ELj16ELj2EllaaffEEvb20rocsparse_direction_T3_S2_llNS_24const_host_device_scalarIT7_EEPKT2_PKS2_PKT4_S2_PKT5_llS5_PT6_ll16rocsparse_order_21rocsparse_index_base_b.has_dyn_sized_stack, 0
	.set _ZN9rocsparseL31bsrmm_large_blockdim_kernel_extILj4ELj16ELj2EllaaffEEvb20rocsparse_direction_T3_S2_llNS_24const_host_device_scalarIT7_EEPKT2_PKS2_PKT4_S2_PKT5_llS5_PT6_ll16rocsparse_order_21rocsparse_index_base_b.has_recursion, 0
	.set _ZN9rocsparseL31bsrmm_large_blockdim_kernel_extILj4ELj16ELj2EllaaffEEvb20rocsparse_direction_T3_S2_llNS_24const_host_device_scalarIT7_EEPKT2_PKS2_PKT4_S2_PKT5_llS5_PT6_ll16rocsparse_order_21rocsparse_index_base_b.has_indirect_call, 0
	.section	.AMDGPU.csdata,"",@progbits
; Kernel info:
; codeLenInByte = 1740
; TotalNumSgprs: 56
; NumVgprs: 30
; NumAgprs: 0
; TotalNumVgprs: 30
; ScratchSize: 0
; MemoryBound: 0
; FloatMode: 240
; IeeeMode: 1
; LDSByteSize: 576 bytes/workgroup (compile time only)
; SGPRBlocks: 6
; VGPRBlocks: 3
; NumSGPRsForWavesPerEU: 56
; NumVGPRsForWavesPerEU: 30
; AccumOffset: 32
; Occupancy: 8
; WaveLimiterHint : 1
; COMPUTE_PGM_RSRC2:SCRATCH_EN: 0
; COMPUTE_PGM_RSRC2:USER_SGPR: 2
; COMPUTE_PGM_RSRC2:TRAP_HANDLER: 0
; COMPUTE_PGM_RSRC2:TGID_X_EN: 1
; COMPUTE_PGM_RSRC2:TGID_Y_EN: 1
; COMPUTE_PGM_RSRC2:TGID_Z_EN: 0
; COMPUTE_PGM_RSRC2:TIDIG_COMP_CNT: 1
; COMPUTE_PGM_RSRC3_GFX90A:ACCUM_OFFSET: 7
; COMPUTE_PGM_RSRC3_GFX90A:TG_SPLIT: 0
	.section	.text._ZN9rocsparseL31bsrmm_large_blockdim_kernel_extILj16ELj16ELj2EllaaffEEvb20rocsparse_direction_T3_S2_llNS_24const_host_device_scalarIT7_EEPKT2_PKS2_PKT4_S2_PKT5_llS5_PT6_ll16rocsparse_order_21rocsparse_index_base_b,"axG",@progbits,_ZN9rocsparseL31bsrmm_large_blockdim_kernel_extILj16ELj16ELj2EllaaffEEvb20rocsparse_direction_T3_S2_llNS_24const_host_device_scalarIT7_EEPKT2_PKS2_PKT4_S2_PKT5_llS5_PT6_ll16rocsparse_order_21rocsparse_index_base_b,comdat
	.globl	_ZN9rocsparseL31bsrmm_large_blockdim_kernel_extILj16ELj16ELj2EllaaffEEvb20rocsparse_direction_T3_S2_llNS_24const_host_device_scalarIT7_EEPKT2_PKS2_PKT4_S2_PKT5_llS5_PT6_ll16rocsparse_order_21rocsparse_index_base_b ; -- Begin function _ZN9rocsparseL31bsrmm_large_blockdim_kernel_extILj16ELj16ELj2EllaaffEEvb20rocsparse_direction_T3_S2_llNS_24const_host_device_scalarIT7_EEPKT2_PKS2_PKT4_S2_PKT5_llS5_PT6_ll16rocsparse_order_21rocsparse_index_base_b
	.p2align	8
	.type	_ZN9rocsparseL31bsrmm_large_blockdim_kernel_extILj16ELj16ELj2EllaaffEEvb20rocsparse_direction_T3_S2_llNS_24const_host_device_scalarIT7_EEPKT2_PKS2_PKT4_S2_PKT5_llS5_PT6_ll16rocsparse_order_21rocsparse_index_base_b,@function
_ZN9rocsparseL31bsrmm_large_blockdim_kernel_extILj16ELj16ELj2EllaaffEEvb20rocsparse_direction_T3_S2_llNS_24const_host_device_scalarIT7_EEPKT2_PKS2_PKT4_S2_PKT5_llS5_PT6_ll16rocsparse_order_21rocsparse_index_base_b: ; @_ZN9rocsparseL31bsrmm_large_blockdim_kernel_extILj16ELj16ELj2EllaaffEEvb20rocsparse_direction_T3_S2_llNS_24const_host_device_scalarIT7_EEPKT2_PKS2_PKT4_S2_PKT5_llS5_PT6_ll16rocsparse_order_21rocsparse_index_base_b
; %bb.0:
	s_load_dwordx4 s[16:19], s[0:1], 0x88
	s_mov_b32 s6, s3
	s_waitcnt lgkmcnt(0)
	s_bitcmp1_b32 s18, 0
	s_load_dwordx2 s[18:19], s[0:1], 0x28
	s_load_dwordx2 s[28:29], s[0:1], 0x68
	s_cselect_b64 s[8:9], -1, 0
	s_xor_b64 s[4:5], s[8:9], -1
	s_and_b64 vcc, exec, s[8:9]
	s_cbranch_vccnz .LBB82_2
; %bb.1:
	s_waitcnt lgkmcnt(0)
	s_load_dword s18, s[18:19], 0x0
.LBB82_2:
	s_andn2_b64 vcc, exec, s[4:5]
	s_cbranch_vccnz .LBB82_4
; %bb.3:
	s_waitcnt lgkmcnt(0)
	s_load_dword s28, s[28:29], 0x0
.LBB82_4:
	s_waitcnt lgkmcnt(0)
	v_cmp_eq_f32_e64 s[4:5], s18, 0
	v_cmp_eq_f32_e64 s[8:9], s28, 1.0
	s_and_b64 s[4:5], s[4:5], s[8:9]
	s_and_b64 vcc, exec, s[4:5]
	s_cbranch_vccnz .LBB82_48
; %bb.5:
	s_load_dwordx4 s[12:15], s[0:1], 0x8
	s_load_dwordx2 s[8:9], s[0:1], 0x30
	s_ashr_i32 s3, s2, 31
	v_mov_b64_e32 v[2:3], s[2:3]
	s_mov_b64 s[34:35], 0
	s_waitcnt lgkmcnt(0)
	v_cmp_le_i64_e32 vcc, s[12:13], v[2:3]
	v_cmp_gt_i64_e64 s[4:5], s[12:13], v[2:3]
	s_mov_b64 s[36:37], 0
	s_cbranch_vccnz .LBB82_7
; %bb.6:
	s_lshl_b64 s[10:11], s[2:3], 3
	s_add_u32 s10, s8, s10
	s_addc_u32 s11, s9, s11
	s_load_dwordx2 s[10:11], s[10:11], 0x0
	s_waitcnt lgkmcnt(0)
	s_sub_u32 s36, s10, s17
	s_subb_u32 s37, s11, 0
.LBB82_7:
	s_andn2_b64 vcc, exec, s[4:5]
	s_cbranch_vccnz .LBB82_9
; %bb.8:
	s_lshl_b64 s[10:11], s[2:3], 3
	s_add_u32 s8, s8, s10
	s_addc_u32 s9, s9, s11
	s_load_dwordx2 s[8:9], s[8:9], 0x8
	s_waitcnt lgkmcnt(0)
	s_sub_u32 s34, s8, s17
	s_subb_u32 s35, s9, 0
.LBB82_9:
	s_load_dwordx2 s[30:31], s[0:1], 0x70
	s_load_dwordx2 s[38:39], s[0:1], 0x48
	v_bfe_u32 v10, v0, 10, 10
	v_lshl_add_u32 v4, s6, 5, v10
	v_mov_b32_e32 v5, 0
	v_and_b32_e32 v6, 0x3ff, v0
	v_mov_b64_e32 v[0:1], s[34:35]
	v_add_u32_e32 v2, 16, v4
	v_mov_b32_e32 v3, v5
	v_mov_b32_e32 v7, v5
	v_cmp_ge_i64_e32 vcc, s[36:37], v[0:1]
	s_waitcnt lgkmcnt(0)
	v_cmp_gt_i64_e64 s[6:7], s[38:39], v[6:7]
	v_cmp_gt_i64_e64 s[8:9], s[14:15], v[4:5]
	;; [unrolled: 1-line block ×3, first 2 shown]
	s_cbranch_vccnz .LBB82_27
; %bb.10:
	s_load_dwordx4 s[24:27], s[0:1], 0x38
	s_load_dwordx2 s[42:43], s[0:1], 0x0
	v_mov_b32_e32 v0, 0x800
	v_lshl_add_u32 v18, v10, 2, v0
	s_load_dwordx4 s[20:23], s[0:1], 0x50
	s_waitcnt lgkmcnt(0)
	v_mov_b64_e32 v[0:1], s[26:27]
	v_mad_u64_u32 v[12:13], s[26:27], s38, v10, v[0:1]
	v_mov_b32_e32 v14, v13
	v_mad_u64_u32 v[14:15], s[26:27], s39, v10, v[14:15]
	v_mov_b32_e32 v13, v14
	v_mad_u64_u32 v[0:1], s[26:27], s38, v6, v[0:1]
	v_lshl_add_u64 v[14:15], v[12:13], 0, v[6:7]
	v_mov_b32_e32 v12, v1
	v_mad_u64_u32 v[12:13], s[26:27], s39, v6, v[12:13]
	v_mov_b32_e32 v11, v5
	v_mov_b32_e32 v1, v12
	s_mul_i32 s3, s38, s39
	s_mul_hi_u32 s12, s38, s38
	v_cmp_gt_i64_e32 vcc, s[38:39], v[10:11]
	v_lshlrev_b32_e32 v20, 6, v10
	v_lshl_add_u64 v[0:1], v[0:1], 0, v[10:11]
	v_mad_u64_u32 v[10:11], s[26:27], s22, v4, 0
	s_add_i32 s12, s12, s3
	v_mov_b32_e32 v12, v11
	s_add_i32 s3, s12, s3
	s_and_b64 s[40:41], s[6:7], vcc
	v_mad_u64_u32 v[12:13], s[26:27], s23, v4, v[12:13]
	s_bitcmp1_b32 s42, 0
	v_mov_b32_e32 v11, v12
	v_mad_u64_u32 v[12:13], s[26:27], s22, v2, 0
	s_cselect_b64 s[12:13], -1, 0
	s_cmp_eq_u32 s43, 0
	v_mov_b32_e32 v16, v13
	v_lshlrev_b32_e32 v19, 2, v6
	s_cselect_b64 vcc, -1, 0
	v_lshlrev_b32_e32 v23, 6, v6
	v_cmp_gt_i64_e64 s[42:43], s[38:39], 0
	v_mad_u64_u32 v[16:17], s[26:27], s23, v2, v[16:17]
	s_mul_i32 s19, s38, s38
	v_lshl_add_u64 v[8:9], s[20:21], 0, v[6:7]
	v_mov_b32_e32 v13, v16
	s_and_b64 s[26:27], s[8:9], s[42:43]
	s_and_b64 s[42:43], s[10:11], s[42:43]
	v_cndmask_b32_e32 v15, v15, v1, vcc
	v_cndmask_b32_e32 v14, v14, v0, vcc
	v_add_u32_e32 v21, 0x800, v23
	v_add_u32_e32 v22, 0x400, v20
	v_mov_b32_e32 v0, v5
	v_mov_b32_e32 v1, v5
	v_add_u32_e32 v23, v18, v23
	v_add_u32_e32 v24, v19, v20
	s_branch .LBB82_13
.LBB82_11:                              ;   in Loop: Header=BB82_13 Depth=1
	s_or_b64 exec, exec, s[46:47]
.LBB82_12:                              ;   in Loop: Header=BB82_13 Depth=1
	s_or_b64 exec, exec, s[44:45]
	s_add_u32 s36, s36, 1
	s_addc_u32 s37, s37, 0
	v_mov_b64_e32 v[16:17], s[34:35]
	v_cmp_ge_i64_e32 vcc, s[36:37], v[16:17]
	s_barrier
	s_cbranch_vccnz .LBB82_28
.LBB82_13:                              ; =>This Loop Header: Depth=1
                                        ;     Child Loop BB82_23 Depth 2
                                        ;     Child Loop BB82_26 Depth 2
	s_and_saveexec_b64 s[44:45], s[6:7]
	s_cbranch_execz .LBB82_18
; %bb.14:                               ;   in Loop: Header=BB82_13 Depth=1
	s_lshl_b64 s[46:47], s[36:37], 3
	s_add_u32 s46, s24, s46
	s_addc_u32 s47, s25, s47
	s_load_dwordx2 s[46:47], s[46:47], 0x0
	v_mov_b32_e32 v25, s38
	v_mov_b64_e32 v[18:19], s[20:21]
	s_waitcnt lgkmcnt(0)
	s_sub_u32 s29, s46, s17
	s_subb_u32 s33, s47, 0
	v_mad_u64_u32 v[16:17], s[46:47], s29, v25, v[6:7]
	s_mul_i32 s46, s29, s39
	s_mul_i32 s33, s33, s38
	s_add_i32 s33, s46, s33
	v_add_u32_e32 v17, s33, v17
	v_mul_lo_u32 v26, v17, s22
	v_mul_lo_u32 v27, v16, s23
	v_mad_u64_u32 v[16:17], s[46:47], v16, s22, v[18:19]
	v_mad_u64_u32 v[18:19], s[46:47], s29, v25, v[8:9]
	v_add3_u32 v17, v26, v17, v27
	v_add_u32_e32 v19, s33, v19
	s_and_saveexec_b64 s[46:47], s[8:9]
	s_cbranch_execz .LBB82_16
; %bb.15:                               ;   in Loop: Header=BB82_13 Depth=1
	v_lshl_add_u64 v[26:27], v[16:17], 0, v[4:5]
	v_lshl_add_u64 v[28:29], v[18:19], 0, v[10:11]
	v_cndmask_b32_e64 v27, v27, v29, s[12:13]
	v_cndmask_b32_e64 v26, v26, v28, s[12:13]
	global_load_sbyte v25, v[26:27], off
	s_waitcnt vmcnt(0)
	v_cvt_f32_i32_e32 v25, v25
	ds_write_b32 v24, v25
.LBB82_16:                              ;   in Loop: Header=BB82_13 Depth=1
	s_or_b64 exec, exec, s[46:47]
	s_and_b64 exec, exec, s[10:11]
	s_cbranch_execz .LBB82_18
; %bb.17:                               ;   in Loop: Header=BB82_13 Depth=1
	v_lshl_add_u64 v[18:19], v[18:19], 0, v[12:13]
	v_lshl_add_u64 v[16:17], v[16:17], 0, v[2:3]
	v_cndmask_b32_e64 v17, v17, v19, s[12:13]
	v_cndmask_b32_e64 v16, v16, v18, s[12:13]
	global_load_sbyte v16, v[16:17], off
	s_waitcnt vmcnt(0)
	v_cvt_f32_i32_e32 v16, v16
	ds_write_b32 v24, v16 offset:1024
.LBB82_18:                              ;   in Loop: Header=BB82_13 Depth=1
	s_or_b64 exec, exec, s[44:45]
	s_and_saveexec_b64 s[44:45], s[40:41]
	s_cbranch_execz .LBB82_20
; %bb.19:                               ;   in Loop: Header=BB82_13 Depth=1
	s_mul_i32 s29, s3, s36
	s_mul_i32 s33, s19, s37
	v_mov_b32_e32 v16, s36
	s_add_i32 s33, s33, s29
	v_mad_u64_u32 v[16:17], s[46:47], s19, v16, v[14:15]
	v_add_u32_e32 v17, s33, v17
	global_load_sbyte v16, v[16:17], off
	s_waitcnt vmcnt(0)
	v_cvt_f32_i32_e32 v16, v16
	ds_write_b32 v23, v16
.LBB82_20:                              ;   in Loop: Header=BB82_13 Depth=1
	s_or_b64 exec, exec, s[44:45]
	s_waitcnt lgkmcnt(0)
	s_barrier
	s_and_saveexec_b64 s[44:45], s[6:7]
	s_cbranch_execz .LBB82_12
; %bb.21:                               ;   in Loop: Header=BB82_13 Depth=1
	s_and_saveexec_b64 s[46:47], s[26:27]
	s_cbranch_execz .LBB82_24
; %bb.22:                               ;   in Loop: Header=BB82_13 Depth=1
	v_mov_b32_e32 v16, v21
	v_mov_b32_e32 v17, v20
	s_mov_b64 s[48:49], s[38:39]
.LBB82_23:                              ;   Parent Loop BB82_13 Depth=1
                                        ; =>  This Inner Loop Header: Depth=2
	ds_read_b32 v18, v16
	ds_read_b32 v19, v17
	s_add_u32 s48, s48, -1
	s_addc_u32 s49, s49, -1
	v_add_u32_e32 v17, 4, v17
	v_add_u32_e32 v16, 4, v16
	s_cmp_lg_u64 s[48:49], 0
	s_waitcnt lgkmcnt(0)
	v_fma_f32 v0, v18, v19, v0
	s_cbranch_scc1 .LBB82_23
.LBB82_24:                              ;   in Loop: Header=BB82_13 Depth=1
	s_or_b64 exec, exec, s[46:47]
	s_and_saveexec_b64 s[46:47], s[42:43]
	s_cbranch_execz .LBB82_11
; %bb.25:                               ;   in Loop: Header=BB82_13 Depth=1
	v_mov_b32_e32 v16, v21
	v_mov_b32_e32 v17, v22
	s_mov_b64 s[48:49], s[38:39]
.LBB82_26:                              ;   Parent Loop BB82_13 Depth=1
                                        ; =>  This Inner Loop Header: Depth=2
	ds_read_b32 v18, v16
	ds_read_b32 v19, v17
	s_add_u32 s48, s48, -1
	s_addc_u32 s49, s49, -1
	v_add_u32_e32 v17, 4, v17
	v_add_u32_e32 v16, 4, v16
	s_cmp_lg_u64 s[48:49], 0
	s_waitcnt lgkmcnt(0)
	v_fma_f32 v1, v18, v19, v1
	s_cbranch_scc1 .LBB82_26
	s_branch .LBB82_11
.LBB82_27:
	v_mov_b32_e32 v0, v5
	v_mov_b32_e32 v1, v5
.LBB82_28:
	s_and_b64 s[4:5], s[4:5], s[6:7]
	s_and_saveexec_b64 s[6:7], s[4:5]
	s_cbranch_execz .LBB82_48
; %bb.29:
	v_mov_b32_e32 v8, s2
	v_mad_u64_u32 v[6:7], s[4:5], s38, v8, v[6:7]
	s_mul_i32 s4, s39, s2
	s_load_dwordx2 s[2:3], s[0:1], 0x78
	v_add_u32_e32 v7, s4, v7
	s_cmp_lg_u32 s16, 1
	v_cmp_neq_f32_e64 s[0:1], s28, 0
	s_cselect_b64 s[4:5], -1, 0
	s_waitcnt lgkmcnt(0)
	v_mul_lo_u32 v10, s3, v6
	v_mul_lo_u32 v11, s2, v7
	v_mad_u64_u32 v[8:9], s[6:7], s2, v6, 0
	v_add3_u32 v9, v9, v11, v10
	v_lshl_add_u64 v[8:9], v[8:9], 2, s[30:31]
	v_lshl_add_u64 v[6:7], v[6:7], 2, s[30:31]
	v_cmp_gt_i64_e32 vcc, s[14:15], v[4:5]
	s_and_saveexec_b64 s[6:7], vcc
	s_cbranch_execz .LBB82_41
; %bb.30:
	s_mov_b64 s[8:9], -1
	s_and_b64 vcc, exec, s[0:1]
	s_cbranch_vccz .LBB82_36
; %bb.31:
	s_and_b64 vcc, exec, s[4:5]
	s_cbranch_vccz .LBB82_33
; %bb.32:
	v_lshl_add_u64 v[10:11], v[4:5], 2, v[8:9]
	global_load_dword v12, v[10:11], off
	v_mul_f32_e32 v13, s18, v0
	s_mov_b64 s[8:9], 0
	s_waitcnt vmcnt(0)
	v_fmac_f32_e32 v13, s28, v12
	global_store_dword v[10:11], v13, off
.LBB82_33:
	s_andn2_b64 vcc, exec, s[8:9]
	s_cbranch_vccnz .LBB82_35
; %bb.34:
	v_mad_u64_u32 v[10:11], s[8:9], s2, v4, 0
	v_mov_b32_e32 v12, v11
	v_mad_u64_u32 v[12:13], s[8:9], s3, v4, v[12:13]
	v_mov_b32_e32 v11, v12
	v_lshl_add_u64 v[10:11], v[10:11], 2, v[6:7]
	global_load_dword v12, v[10:11], off
	v_mul_f32_e32 v13, s18, v0
	s_waitcnt vmcnt(0)
	v_fmac_f32_e32 v13, s28, v12
	global_store_dword v[10:11], v13, off
.LBB82_35:
	s_mov_b64 s[8:9], 0
.LBB82_36:
	s_andn2_b64 vcc, exec, s[8:9]
	s_cbranch_vccnz .LBB82_41
; %bb.37:
	v_mul_f32_e32 v0, s18, v0
	s_mov_b64 s[8:9], -1
	s_and_b64 vcc, exec, s[4:5]
	s_cbranch_vccz .LBB82_39
; %bb.38:
	v_lshl_add_u64 v[10:11], v[4:5], 2, v[8:9]
	global_store_dword v[10:11], v0, off
	s_mov_b64 s[8:9], 0
.LBB82_39:
	s_andn2_b64 vcc, exec, s[8:9]
	s_cbranch_vccnz .LBB82_41
; %bb.40:
	v_mad_u64_u32 v[10:11], s[8:9], s2, v4, 0
	v_mov_b32_e32 v12, v11
	v_mad_u64_u32 v[4:5], s[8:9], s3, v4, v[12:13]
	v_mov_b32_e32 v11, v4
	v_lshl_add_u64 v[4:5], v[10:11], 2, v[6:7]
	global_store_dword v[4:5], v0, off
.LBB82_41:
	s_or_b64 exec, exec, s[6:7]
	v_cmp_gt_i64_e32 vcc, s[14:15], v[2:3]
	s_and_b64 exec, exec, vcc
	s_cbranch_execz .LBB82_48
; %bb.42:
	v_cndmask_b32_e64 v0, 0, 1, s[4:5]
	s_andn2_b64 vcc, exec, s[0:1]
	v_cmp_ne_u32_e64 s[0:1], 1, v0
	s_cbranch_vccnz .LBB82_49
; %bb.43:
	s_and_b64 vcc, exec, s[0:1]
	s_mov_b64 s[4:5], -1
	s_cbranch_vccnz .LBB82_45
; %bb.44:
	v_lshl_add_u64 v[4:5], v[2:3], 2, v[8:9]
	global_load_dword v0, v[4:5], off
	v_mul_f32_e32 v10, s18, v1
	s_mov_b64 s[4:5], 0
	s_waitcnt vmcnt(0)
	v_fmac_f32_e32 v10, s28, v0
	global_store_dword v[4:5], v10, off
.LBB82_45:
	s_andn2_b64 vcc, exec, s[4:5]
	s_cbranch_vccnz .LBB82_47
; %bb.46:
	v_mad_u64_u32 v[4:5], s[4:5], s2, v2, 0
	v_mov_b32_e32 v0, v5
	v_mad_u64_u32 v[10:11], s[4:5], s3, v2, v[0:1]
	v_mov_b32_e32 v5, v10
	v_lshl_add_u64 v[4:5], v[4:5], 2, v[6:7]
	global_load_dword v0, v[4:5], off
	v_mul_f32_e32 v10, s18, v1
	s_waitcnt vmcnt(0)
	v_fmac_f32_e32 v10, s28, v0
	global_store_dword v[4:5], v10, off
.LBB82_47:
	s_cbranch_execz .LBB82_50
.LBB82_48:
	s_endpgm
.LBB82_49:
.LBB82_50:
	v_mul_f32_e32 v0, s18, v1
	s_and_b64 vcc, exec, s[0:1]
	s_mov_b64 s[0:1], -1
	s_cbranch_vccnz .LBB82_52
; %bb.51:
	v_lshl_add_u64 v[4:5], v[2:3], 2, v[8:9]
	s_mov_b64 s[0:1], 0
	global_store_dword v[4:5], v0, off
.LBB82_52:
	s_andn2_b64 vcc, exec, s[0:1]
	s_cbranch_vccnz .LBB82_48
; %bb.53:
	v_mad_u64_u32 v[4:5], s[0:1], s2, v2, 0
	v_mov_b32_e32 v8, v5
	v_mad_u64_u32 v[2:3], s[0:1], s3, v2, v[8:9]
	v_mov_b32_e32 v5, v2
	v_lshl_add_u64 v[2:3], v[4:5], 2, v[6:7]
	global_store_dword v[2:3], v0, off
	s_endpgm
	.section	.rodata,"a",@progbits
	.p2align	6, 0x0
	.amdhsa_kernel _ZN9rocsparseL31bsrmm_large_blockdim_kernel_extILj16ELj16ELj2EllaaffEEvb20rocsparse_direction_T3_S2_llNS_24const_host_device_scalarIT7_EEPKT2_PKS2_PKT4_S2_PKT5_llS5_PT6_ll16rocsparse_order_21rocsparse_index_base_b
		.amdhsa_group_segment_fixed_size 3072
		.amdhsa_private_segment_fixed_size 0
		.amdhsa_kernarg_size 148
		.amdhsa_user_sgpr_count 2
		.amdhsa_user_sgpr_dispatch_ptr 0
		.amdhsa_user_sgpr_queue_ptr 0
		.amdhsa_user_sgpr_kernarg_segment_ptr 1
		.amdhsa_user_sgpr_dispatch_id 0
		.amdhsa_user_sgpr_kernarg_preload_length 0
		.amdhsa_user_sgpr_kernarg_preload_offset 0
		.amdhsa_user_sgpr_private_segment_size 0
		.amdhsa_uses_dynamic_stack 0
		.amdhsa_enable_private_segment 0
		.amdhsa_system_sgpr_workgroup_id_x 1
		.amdhsa_system_sgpr_workgroup_id_y 1
		.amdhsa_system_sgpr_workgroup_id_z 0
		.amdhsa_system_sgpr_workgroup_info 0
		.amdhsa_system_vgpr_workitem_id 1
		.amdhsa_next_free_vgpr 30
		.amdhsa_next_free_sgpr 50
		.amdhsa_accum_offset 32
		.amdhsa_reserve_vcc 1
		.amdhsa_float_round_mode_32 0
		.amdhsa_float_round_mode_16_64 0
		.amdhsa_float_denorm_mode_32 3
		.amdhsa_float_denorm_mode_16_64 3
		.amdhsa_dx10_clamp 1
		.amdhsa_ieee_mode 1
		.amdhsa_fp16_overflow 0
		.amdhsa_tg_split 0
		.amdhsa_exception_fp_ieee_invalid_op 0
		.amdhsa_exception_fp_denorm_src 0
		.amdhsa_exception_fp_ieee_div_zero 0
		.amdhsa_exception_fp_ieee_overflow 0
		.amdhsa_exception_fp_ieee_underflow 0
		.amdhsa_exception_fp_ieee_inexact 0
		.amdhsa_exception_int_div_zero 0
	.end_amdhsa_kernel
	.section	.text._ZN9rocsparseL31bsrmm_large_blockdim_kernel_extILj16ELj16ELj2EllaaffEEvb20rocsparse_direction_T3_S2_llNS_24const_host_device_scalarIT7_EEPKT2_PKS2_PKT4_S2_PKT5_llS5_PT6_ll16rocsparse_order_21rocsparse_index_base_b,"axG",@progbits,_ZN9rocsparseL31bsrmm_large_blockdim_kernel_extILj16ELj16ELj2EllaaffEEvb20rocsparse_direction_T3_S2_llNS_24const_host_device_scalarIT7_EEPKT2_PKS2_PKT4_S2_PKT5_llS5_PT6_ll16rocsparse_order_21rocsparse_index_base_b,comdat
.Lfunc_end82:
	.size	_ZN9rocsparseL31bsrmm_large_blockdim_kernel_extILj16ELj16ELj2EllaaffEEvb20rocsparse_direction_T3_S2_llNS_24const_host_device_scalarIT7_EEPKT2_PKS2_PKT4_S2_PKT5_llS5_PT6_ll16rocsparse_order_21rocsparse_index_base_b, .Lfunc_end82-_ZN9rocsparseL31bsrmm_large_blockdim_kernel_extILj16ELj16ELj2EllaaffEEvb20rocsparse_direction_T3_S2_llNS_24const_host_device_scalarIT7_EEPKT2_PKS2_PKT4_S2_PKT5_llS5_PT6_ll16rocsparse_order_21rocsparse_index_base_b
                                        ; -- End function
	.set _ZN9rocsparseL31bsrmm_large_blockdim_kernel_extILj16ELj16ELj2EllaaffEEvb20rocsparse_direction_T3_S2_llNS_24const_host_device_scalarIT7_EEPKT2_PKS2_PKT4_S2_PKT5_llS5_PT6_ll16rocsparse_order_21rocsparse_index_base_b.num_vgpr, 30
	.set _ZN9rocsparseL31bsrmm_large_blockdim_kernel_extILj16ELj16ELj2EllaaffEEvb20rocsparse_direction_T3_S2_llNS_24const_host_device_scalarIT7_EEPKT2_PKS2_PKT4_S2_PKT5_llS5_PT6_ll16rocsparse_order_21rocsparse_index_base_b.num_agpr, 0
	.set _ZN9rocsparseL31bsrmm_large_blockdim_kernel_extILj16ELj16ELj2EllaaffEEvb20rocsparse_direction_T3_S2_llNS_24const_host_device_scalarIT7_EEPKT2_PKS2_PKT4_S2_PKT5_llS5_PT6_ll16rocsparse_order_21rocsparse_index_base_b.numbered_sgpr, 50
	.set _ZN9rocsparseL31bsrmm_large_blockdim_kernel_extILj16ELj16ELj2EllaaffEEvb20rocsparse_direction_T3_S2_llNS_24const_host_device_scalarIT7_EEPKT2_PKS2_PKT4_S2_PKT5_llS5_PT6_ll16rocsparse_order_21rocsparse_index_base_b.num_named_barrier, 0
	.set _ZN9rocsparseL31bsrmm_large_blockdim_kernel_extILj16ELj16ELj2EllaaffEEvb20rocsparse_direction_T3_S2_llNS_24const_host_device_scalarIT7_EEPKT2_PKS2_PKT4_S2_PKT5_llS5_PT6_ll16rocsparse_order_21rocsparse_index_base_b.private_seg_size, 0
	.set _ZN9rocsparseL31bsrmm_large_blockdim_kernel_extILj16ELj16ELj2EllaaffEEvb20rocsparse_direction_T3_S2_llNS_24const_host_device_scalarIT7_EEPKT2_PKS2_PKT4_S2_PKT5_llS5_PT6_ll16rocsparse_order_21rocsparse_index_base_b.uses_vcc, 1
	.set _ZN9rocsparseL31bsrmm_large_blockdim_kernel_extILj16ELj16ELj2EllaaffEEvb20rocsparse_direction_T3_S2_llNS_24const_host_device_scalarIT7_EEPKT2_PKS2_PKT4_S2_PKT5_llS5_PT6_ll16rocsparse_order_21rocsparse_index_base_b.uses_flat_scratch, 0
	.set _ZN9rocsparseL31bsrmm_large_blockdim_kernel_extILj16ELj16ELj2EllaaffEEvb20rocsparse_direction_T3_S2_llNS_24const_host_device_scalarIT7_EEPKT2_PKS2_PKT4_S2_PKT5_llS5_PT6_ll16rocsparse_order_21rocsparse_index_base_b.has_dyn_sized_stack, 0
	.set _ZN9rocsparseL31bsrmm_large_blockdim_kernel_extILj16ELj16ELj2EllaaffEEvb20rocsparse_direction_T3_S2_llNS_24const_host_device_scalarIT7_EEPKT2_PKS2_PKT4_S2_PKT5_llS5_PT6_ll16rocsparse_order_21rocsparse_index_base_b.has_recursion, 0
	.set _ZN9rocsparseL31bsrmm_large_blockdim_kernel_extILj16ELj16ELj2EllaaffEEvb20rocsparse_direction_T3_S2_llNS_24const_host_device_scalarIT7_EEPKT2_PKS2_PKT4_S2_PKT5_llS5_PT6_ll16rocsparse_order_21rocsparse_index_base_b.has_indirect_call, 0
	.section	.AMDGPU.csdata,"",@progbits
; Kernel info:
; codeLenInByte = 1748
; TotalNumSgprs: 56
; NumVgprs: 30
; NumAgprs: 0
; TotalNumVgprs: 30
; ScratchSize: 0
; MemoryBound: 0
; FloatMode: 240
; IeeeMode: 1
; LDSByteSize: 3072 bytes/workgroup (compile time only)
; SGPRBlocks: 6
; VGPRBlocks: 3
; NumSGPRsForWavesPerEU: 56
; NumVGPRsForWavesPerEU: 30
; AccumOffset: 32
; Occupancy: 8
; WaveLimiterHint : 1
; COMPUTE_PGM_RSRC2:SCRATCH_EN: 0
; COMPUTE_PGM_RSRC2:USER_SGPR: 2
; COMPUTE_PGM_RSRC2:TRAP_HANDLER: 0
; COMPUTE_PGM_RSRC2:TGID_X_EN: 1
; COMPUTE_PGM_RSRC2:TGID_Y_EN: 1
; COMPUTE_PGM_RSRC2:TGID_Z_EN: 0
; COMPUTE_PGM_RSRC2:TIDIG_COMP_CNT: 1
; COMPUTE_PGM_RSRC3_GFX90A:ACCUM_OFFSET: 7
; COMPUTE_PGM_RSRC3_GFX90A:TG_SPLIT: 0
	.section	.text._ZN9rocsparseL31bsrmm_large_blockdim_kernel_extILj32ELj32ELj2EllaaffEEvb20rocsparse_direction_T3_S2_llNS_24const_host_device_scalarIT7_EEPKT2_PKS2_PKT4_S2_PKT5_llS5_PT6_ll16rocsparse_order_21rocsparse_index_base_b,"axG",@progbits,_ZN9rocsparseL31bsrmm_large_blockdim_kernel_extILj32ELj32ELj2EllaaffEEvb20rocsparse_direction_T3_S2_llNS_24const_host_device_scalarIT7_EEPKT2_PKS2_PKT4_S2_PKT5_llS5_PT6_ll16rocsparse_order_21rocsparse_index_base_b,comdat
	.globl	_ZN9rocsparseL31bsrmm_large_blockdim_kernel_extILj32ELj32ELj2EllaaffEEvb20rocsparse_direction_T3_S2_llNS_24const_host_device_scalarIT7_EEPKT2_PKS2_PKT4_S2_PKT5_llS5_PT6_ll16rocsparse_order_21rocsparse_index_base_b ; -- Begin function _ZN9rocsparseL31bsrmm_large_blockdim_kernel_extILj32ELj32ELj2EllaaffEEvb20rocsparse_direction_T3_S2_llNS_24const_host_device_scalarIT7_EEPKT2_PKS2_PKT4_S2_PKT5_llS5_PT6_ll16rocsparse_order_21rocsparse_index_base_b
	.p2align	8
	.type	_ZN9rocsparseL31bsrmm_large_blockdim_kernel_extILj32ELj32ELj2EllaaffEEvb20rocsparse_direction_T3_S2_llNS_24const_host_device_scalarIT7_EEPKT2_PKS2_PKT4_S2_PKT5_llS5_PT6_ll16rocsparse_order_21rocsparse_index_base_b,@function
_ZN9rocsparseL31bsrmm_large_blockdim_kernel_extILj32ELj32ELj2EllaaffEEvb20rocsparse_direction_T3_S2_llNS_24const_host_device_scalarIT7_EEPKT2_PKS2_PKT4_S2_PKT5_llS5_PT6_ll16rocsparse_order_21rocsparse_index_base_b: ; @_ZN9rocsparseL31bsrmm_large_blockdim_kernel_extILj32ELj32ELj2EllaaffEEvb20rocsparse_direction_T3_S2_llNS_24const_host_device_scalarIT7_EEPKT2_PKS2_PKT4_S2_PKT5_llS5_PT6_ll16rocsparse_order_21rocsparse_index_base_b
; %bb.0:
	s_load_dwordx4 s[16:19], s[0:1], 0x88
	s_mov_b32 s6, s3
	s_waitcnt lgkmcnt(0)
	s_bitcmp1_b32 s18, 0
	s_load_dwordx2 s[18:19], s[0:1], 0x28
	s_load_dwordx2 s[28:29], s[0:1], 0x68
	s_cselect_b64 s[8:9], -1, 0
	s_xor_b64 s[4:5], s[8:9], -1
	s_and_b64 vcc, exec, s[8:9]
	s_cbranch_vccnz .LBB83_2
; %bb.1:
	s_waitcnt lgkmcnt(0)
	s_load_dword s18, s[18:19], 0x0
.LBB83_2:
	s_andn2_b64 vcc, exec, s[4:5]
	s_cbranch_vccnz .LBB83_4
; %bb.3:
	s_waitcnt lgkmcnt(0)
	s_load_dword s28, s[28:29], 0x0
.LBB83_4:
	s_waitcnt lgkmcnt(0)
	v_cmp_eq_f32_e64 s[4:5], s18, 0
	v_cmp_eq_f32_e64 s[8:9], s28, 1.0
	s_and_b64 s[4:5], s[4:5], s[8:9]
	s_and_b64 vcc, exec, s[4:5]
	s_cbranch_vccnz .LBB83_48
; %bb.5:
	s_load_dwordx4 s[12:15], s[0:1], 0x8
	s_load_dwordx2 s[8:9], s[0:1], 0x30
	s_ashr_i32 s3, s2, 31
	v_mov_b64_e32 v[2:3], s[2:3]
	s_mov_b64 s[42:43], 0
	s_waitcnt lgkmcnt(0)
	v_cmp_le_i64_e32 vcc, s[12:13], v[2:3]
	v_cmp_gt_i64_e64 s[4:5], s[12:13], v[2:3]
	s_mov_b64 s[34:35], 0
	s_cbranch_vccnz .LBB83_7
; %bb.6:
	s_lshl_b64 s[10:11], s[2:3], 3
	s_add_u32 s10, s8, s10
	s_addc_u32 s11, s9, s11
	s_load_dwordx2 s[10:11], s[10:11], 0x0
	s_waitcnt lgkmcnt(0)
	s_sub_u32 s34, s10, s17
	s_subb_u32 s35, s11, 0
.LBB83_7:
	s_andn2_b64 vcc, exec, s[4:5]
	s_cbranch_vccnz .LBB83_9
; %bb.8:
	s_lshl_b64 s[10:11], s[2:3], 3
	s_add_u32 s8, s8, s10
	s_addc_u32 s9, s9, s11
	s_load_dwordx2 s[8:9], s[8:9], 0x8
	s_waitcnt lgkmcnt(0)
	s_sub_u32 s42, s8, s17
	s_subb_u32 s43, s9, 0
.LBB83_9:
	s_load_dwordx2 s[30:31], s[0:1], 0x70
	s_load_dwordx2 s[36:37], s[0:1], 0x48
	v_bfe_u32 v10, v0, 10, 10
	v_lshl_add_u32 v4, s6, 6, v10
	v_mov_b32_e32 v5, 0
	v_and_b32_e32 v6, 0x3ff, v0
	v_mov_b64_e32 v[0:1], s[42:43]
	v_add_u32_e32 v2, 32, v4
	v_mov_b32_e32 v3, v5
	v_mov_b32_e32 v7, v5
	v_cmp_ge_i64_e32 vcc, s[34:35], v[0:1]
	s_waitcnt lgkmcnt(0)
	v_cmp_gt_i64_e64 s[6:7], s[36:37], v[6:7]
	v_cmp_gt_i64_e64 s[8:9], s[14:15], v[4:5]
	;; [unrolled: 1-line block ×3, first 2 shown]
	s_cbranch_vccnz .LBB83_27
; %bb.10:
	s_load_dwordx4 s[24:27], s[0:1], 0x38
	s_load_dwordx2 s[40:41], s[0:1], 0x0
	v_mov_b32_e32 v0, 0x2000
	v_lshl_add_u32 v18, v10, 2, v0
	s_load_dwordx4 s[20:23], s[0:1], 0x50
	s_waitcnt lgkmcnt(0)
	v_mov_b64_e32 v[0:1], s[26:27]
	v_mad_u64_u32 v[12:13], s[26:27], s36, v10, v[0:1]
	v_mov_b32_e32 v14, v13
	v_mad_u64_u32 v[14:15], s[26:27], s37, v10, v[14:15]
	v_mov_b32_e32 v13, v14
	v_mad_u64_u32 v[0:1], s[26:27], s36, v6, v[0:1]
	v_lshl_add_u64 v[14:15], v[12:13], 0, v[6:7]
	v_mov_b32_e32 v12, v1
	v_mad_u64_u32 v[12:13], s[26:27], s37, v6, v[12:13]
	v_mov_b32_e32 v11, v5
	v_mov_b32_e32 v1, v12
	s_mul_i32 s3, s36, s37
	s_mul_hi_u32 s12, s36, s36
	v_cmp_gt_i64_e32 vcc, s[36:37], v[10:11]
	v_lshlrev_b32_e32 v22, 7, v10
	v_lshl_add_u64 v[0:1], v[0:1], 0, v[10:11]
	v_mad_u64_u32 v[10:11], s[26:27], s22, v4, 0
	s_add_i32 s12, s12, s3
	v_mov_b32_e32 v12, v11
	s_add_i32 s3, s12, s3
	s_and_b64 s[38:39], s[6:7], vcc
	v_mad_u64_u32 v[12:13], s[26:27], s23, v4, v[12:13]
	s_bitcmp1_b32 s40, 0
	v_mov_b32_e32 v11, v12
	v_mad_u64_u32 v[12:13], s[26:27], s22, v2, 0
	s_cselect_b64 s[12:13], -1, 0
	s_cmp_eq_u32 s41, 0
	v_mov_b32_e32 v16, v13
	v_lshlrev_b32_e32 v19, 2, v6
	s_cselect_b64 vcc, -1, 0
	v_lshlrev_b32_e32 v20, 7, v6
	v_cmp_gt_i64_e64 s[40:41], s[36:37], 0
	v_mad_u64_u32 v[16:17], s[26:27], s23, v2, v[16:17]
	s_mul_i32 s19, s36, s36
	v_lshl_add_u64 v[8:9], s[20:21], 0, v[6:7]
	v_mov_b32_e32 v13, v16
	s_and_b64 s[26:27], s[8:9], s[40:41]
	s_and_b64 s[40:41], s[10:11], s[40:41]
	v_cndmask_b32_e32 v15, v15, v1, vcc
	v_cndmask_b32_e32 v14, v14, v0, vcc
	v_add_u32_e32 v23, 0x2000, v20
	v_add_u32_e32 v24, 0x1000, v22
	v_mov_b32_e32 v0, v5
	v_mov_b32_e32 v1, v5
	v_add_u32_e32 v25, v19, v22
	v_add_u32_e32 v26, v18, v20
	v_mov_b64_e32 v[16:17], s[42:43]
	s_branch .LBB83_13
.LBB83_11:                              ;   in Loop: Header=BB83_13 Depth=1
	s_or_b64 exec, exec, s[44:45]
.LBB83_12:                              ;   in Loop: Header=BB83_13 Depth=1
	s_or_b64 exec, exec, s[42:43]
	s_add_u32 s34, s34, 1
	s_addc_u32 s35, s35, 0
	v_cmp_ge_i64_e32 vcc, s[34:35], v[16:17]
	s_barrier
	s_cbranch_vccnz .LBB83_28
.LBB83_13:                              ; =>This Loop Header: Depth=1
                                        ;     Child Loop BB83_23 Depth 2
                                        ;     Child Loop BB83_26 Depth 2
	s_and_saveexec_b64 s[42:43], s[6:7]
	s_cbranch_execz .LBB83_18
; %bb.14:                               ;   in Loop: Header=BB83_13 Depth=1
	s_lshl_b64 s[44:45], s[34:35], 3
	s_add_u32 s44, s24, s44
	s_addc_u32 s45, s25, s45
	s_load_dwordx2 s[44:45], s[44:45], 0x0
	v_mov_b32_e32 v27, s36
	v_mov_b64_e32 v[20:21], s[20:21]
	s_waitcnt lgkmcnt(0)
	s_sub_u32 s29, s44, s17
	s_subb_u32 s33, s45, 0
	v_mad_u64_u32 v[18:19], s[44:45], s29, v27, v[6:7]
	s_mul_i32 s44, s29, s37
	s_mul_i32 s33, s33, s36
	s_add_i32 s33, s44, s33
	v_add_u32_e32 v19, s33, v19
	v_mul_lo_u32 v28, v19, s22
	v_mul_lo_u32 v29, v18, s23
	v_mad_u64_u32 v[18:19], s[44:45], v18, s22, v[20:21]
	v_mad_u64_u32 v[20:21], s[44:45], s29, v27, v[8:9]
	v_add3_u32 v19, v28, v19, v29
	v_add_u32_e32 v21, s33, v21
	s_and_saveexec_b64 s[44:45], s[8:9]
	s_cbranch_execz .LBB83_16
; %bb.15:                               ;   in Loop: Header=BB83_13 Depth=1
	v_lshl_add_u64 v[28:29], v[18:19], 0, v[4:5]
	v_lshl_add_u64 v[30:31], v[20:21], 0, v[10:11]
	v_cndmask_b32_e64 v29, v29, v31, s[12:13]
	v_cndmask_b32_e64 v28, v28, v30, s[12:13]
	global_load_sbyte v27, v[28:29], off
	s_waitcnt vmcnt(0)
	v_cvt_f32_i32_e32 v27, v27
	ds_write_b32 v25, v27
.LBB83_16:                              ;   in Loop: Header=BB83_13 Depth=1
	s_or_b64 exec, exec, s[44:45]
	s_and_b64 exec, exec, s[10:11]
	s_cbranch_execz .LBB83_18
; %bb.17:                               ;   in Loop: Header=BB83_13 Depth=1
	v_lshl_add_u64 v[20:21], v[20:21], 0, v[12:13]
	v_lshl_add_u64 v[18:19], v[18:19], 0, v[2:3]
	v_cndmask_b32_e64 v19, v19, v21, s[12:13]
	v_cndmask_b32_e64 v18, v18, v20, s[12:13]
	global_load_sbyte v18, v[18:19], off
	s_waitcnt vmcnt(0)
	v_cvt_f32_i32_e32 v18, v18
	ds_write_b32 v25, v18 offset:4096
.LBB83_18:                              ;   in Loop: Header=BB83_13 Depth=1
	s_or_b64 exec, exec, s[42:43]
	s_and_saveexec_b64 s[42:43], s[38:39]
	s_cbranch_execz .LBB83_20
; %bb.19:                               ;   in Loop: Header=BB83_13 Depth=1
	s_mul_i32 s29, s3, s34
	s_mul_i32 s33, s19, s35
	v_mov_b32_e32 v18, s34
	s_add_i32 s33, s33, s29
	v_mad_u64_u32 v[18:19], s[44:45], s19, v18, v[14:15]
	v_add_u32_e32 v19, s33, v19
	global_load_sbyte v18, v[18:19], off
	s_waitcnt vmcnt(0)
	v_cvt_f32_i32_e32 v18, v18
	ds_write_b32 v26, v18
.LBB83_20:                              ;   in Loop: Header=BB83_13 Depth=1
	s_or_b64 exec, exec, s[42:43]
	s_waitcnt lgkmcnt(0)
	s_barrier
	s_and_saveexec_b64 s[42:43], s[6:7]
	s_cbranch_execz .LBB83_12
; %bb.21:                               ;   in Loop: Header=BB83_13 Depth=1
	s_and_saveexec_b64 s[44:45], s[26:27]
	s_cbranch_execz .LBB83_24
; %bb.22:                               ;   in Loop: Header=BB83_13 Depth=1
	v_mov_b32_e32 v18, v23
	v_mov_b32_e32 v19, v22
	s_mov_b64 s[46:47], s[36:37]
.LBB83_23:                              ;   Parent Loop BB83_13 Depth=1
                                        ; =>  This Inner Loop Header: Depth=2
	ds_read_b32 v20, v18
	ds_read_b32 v21, v19
	s_add_u32 s46, s46, -1
	s_addc_u32 s47, s47, -1
	v_add_u32_e32 v19, 4, v19
	v_add_u32_e32 v18, 4, v18
	s_cmp_lg_u64 s[46:47], 0
	s_waitcnt lgkmcnt(0)
	v_fma_f32 v0, v20, v21, v0
	s_cbranch_scc1 .LBB83_23
.LBB83_24:                              ;   in Loop: Header=BB83_13 Depth=1
	s_or_b64 exec, exec, s[44:45]
	s_and_saveexec_b64 s[44:45], s[40:41]
	s_cbranch_execz .LBB83_11
; %bb.25:                               ;   in Loop: Header=BB83_13 Depth=1
	v_mov_b32_e32 v18, v23
	v_mov_b32_e32 v19, v24
	s_mov_b64 s[46:47], s[36:37]
.LBB83_26:                              ;   Parent Loop BB83_13 Depth=1
                                        ; =>  This Inner Loop Header: Depth=2
	ds_read_b32 v20, v18
	ds_read_b32 v21, v19
	s_add_u32 s46, s46, -1
	s_addc_u32 s47, s47, -1
	v_add_u32_e32 v19, 4, v19
	v_add_u32_e32 v18, 4, v18
	s_cmp_lg_u64 s[46:47], 0
	s_waitcnt lgkmcnt(0)
	v_fma_f32 v1, v20, v21, v1
	s_cbranch_scc1 .LBB83_26
	s_branch .LBB83_11
.LBB83_27:
	v_mov_b32_e32 v0, v5
	v_mov_b32_e32 v1, v5
.LBB83_28:
	s_and_b64 s[4:5], s[4:5], s[6:7]
	s_and_saveexec_b64 s[6:7], s[4:5]
	s_cbranch_execz .LBB83_48
; %bb.29:
	v_mov_b32_e32 v8, s2
	v_mad_u64_u32 v[6:7], s[4:5], s36, v8, v[6:7]
	s_mul_i32 s4, s37, s2
	s_load_dwordx2 s[2:3], s[0:1], 0x78
	v_add_u32_e32 v7, s4, v7
	s_cmp_lg_u32 s16, 1
	v_cmp_neq_f32_e64 s[0:1], s28, 0
	s_cselect_b64 s[4:5], -1, 0
	s_waitcnt lgkmcnt(0)
	v_mul_lo_u32 v10, s3, v6
	v_mul_lo_u32 v11, s2, v7
	v_mad_u64_u32 v[8:9], s[6:7], s2, v6, 0
	v_add3_u32 v9, v9, v11, v10
	v_lshl_add_u64 v[8:9], v[8:9], 2, s[30:31]
	v_lshl_add_u64 v[6:7], v[6:7], 2, s[30:31]
	v_cmp_gt_i64_e32 vcc, s[14:15], v[4:5]
	s_and_saveexec_b64 s[6:7], vcc
	s_cbranch_execz .LBB83_41
; %bb.30:
	s_mov_b64 s[8:9], -1
	s_and_b64 vcc, exec, s[0:1]
	s_cbranch_vccz .LBB83_36
; %bb.31:
	s_and_b64 vcc, exec, s[4:5]
	s_cbranch_vccz .LBB83_33
; %bb.32:
	v_lshl_add_u64 v[10:11], v[4:5], 2, v[8:9]
	global_load_dword v12, v[10:11], off
	v_mul_f32_e32 v13, s18, v0
	s_mov_b64 s[8:9], 0
	s_waitcnt vmcnt(0)
	v_fmac_f32_e32 v13, s28, v12
	global_store_dword v[10:11], v13, off
.LBB83_33:
	s_andn2_b64 vcc, exec, s[8:9]
	s_cbranch_vccnz .LBB83_35
; %bb.34:
	v_mad_u64_u32 v[10:11], s[8:9], s2, v4, 0
	v_mov_b32_e32 v12, v11
	v_mad_u64_u32 v[12:13], s[8:9], s3, v4, v[12:13]
	v_mov_b32_e32 v11, v12
	v_lshl_add_u64 v[10:11], v[10:11], 2, v[6:7]
	global_load_dword v12, v[10:11], off
	v_mul_f32_e32 v13, s18, v0
	s_waitcnt vmcnt(0)
	v_fmac_f32_e32 v13, s28, v12
	global_store_dword v[10:11], v13, off
.LBB83_35:
	s_mov_b64 s[8:9], 0
.LBB83_36:
	s_andn2_b64 vcc, exec, s[8:9]
	s_cbranch_vccnz .LBB83_41
; %bb.37:
	v_mul_f32_e32 v0, s18, v0
	s_mov_b64 s[8:9], -1
	s_and_b64 vcc, exec, s[4:5]
	s_cbranch_vccz .LBB83_39
; %bb.38:
	v_lshl_add_u64 v[10:11], v[4:5], 2, v[8:9]
	global_store_dword v[10:11], v0, off
	s_mov_b64 s[8:9], 0
.LBB83_39:
	s_andn2_b64 vcc, exec, s[8:9]
	s_cbranch_vccnz .LBB83_41
; %bb.40:
	v_mad_u64_u32 v[10:11], s[8:9], s2, v4, 0
	v_mov_b32_e32 v12, v11
	v_mad_u64_u32 v[4:5], s[8:9], s3, v4, v[12:13]
	v_mov_b32_e32 v11, v4
	v_lshl_add_u64 v[4:5], v[10:11], 2, v[6:7]
	global_store_dword v[4:5], v0, off
.LBB83_41:
	s_or_b64 exec, exec, s[6:7]
	v_cmp_gt_i64_e32 vcc, s[14:15], v[2:3]
	s_and_b64 exec, exec, vcc
	s_cbranch_execz .LBB83_48
; %bb.42:
	v_cndmask_b32_e64 v0, 0, 1, s[4:5]
	s_andn2_b64 vcc, exec, s[0:1]
	v_cmp_ne_u32_e64 s[0:1], 1, v0
	s_cbranch_vccnz .LBB83_49
; %bb.43:
	s_and_b64 vcc, exec, s[0:1]
	s_mov_b64 s[4:5], -1
	s_cbranch_vccnz .LBB83_45
; %bb.44:
	v_lshl_add_u64 v[4:5], v[2:3], 2, v[8:9]
	global_load_dword v0, v[4:5], off
	v_mul_f32_e32 v10, s18, v1
	s_mov_b64 s[4:5], 0
	s_waitcnt vmcnt(0)
	v_fmac_f32_e32 v10, s28, v0
	global_store_dword v[4:5], v10, off
.LBB83_45:
	s_andn2_b64 vcc, exec, s[4:5]
	s_cbranch_vccnz .LBB83_47
; %bb.46:
	v_mad_u64_u32 v[4:5], s[4:5], s2, v2, 0
	v_mov_b32_e32 v0, v5
	v_mad_u64_u32 v[10:11], s[4:5], s3, v2, v[0:1]
	v_mov_b32_e32 v5, v10
	v_lshl_add_u64 v[4:5], v[4:5], 2, v[6:7]
	global_load_dword v0, v[4:5], off
	v_mul_f32_e32 v10, s18, v1
	s_waitcnt vmcnt(0)
	v_fmac_f32_e32 v10, s28, v0
	global_store_dword v[4:5], v10, off
.LBB83_47:
	s_cbranch_execz .LBB83_50
.LBB83_48:
	s_endpgm
.LBB83_49:
.LBB83_50:
	v_mul_f32_e32 v0, s18, v1
	s_and_b64 vcc, exec, s[0:1]
	s_mov_b64 s[0:1], -1
	s_cbranch_vccnz .LBB83_52
; %bb.51:
	v_lshl_add_u64 v[4:5], v[2:3], 2, v[8:9]
	s_mov_b64 s[0:1], 0
	global_store_dword v[4:5], v0, off
.LBB83_52:
	s_andn2_b64 vcc, exec, s[0:1]
	s_cbranch_vccnz .LBB83_48
; %bb.53:
	v_mad_u64_u32 v[4:5], s[0:1], s2, v2, 0
	v_mov_b32_e32 v8, v5
	v_mad_u64_u32 v[2:3], s[0:1], s3, v2, v[8:9]
	v_mov_b32_e32 v5, v2
	v_lshl_add_u64 v[2:3], v[4:5], 2, v[6:7]
	global_store_dword v[2:3], v0, off
	s_endpgm
	.section	.rodata,"a",@progbits
	.p2align	6, 0x0
	.amdhsa_kernel _ZN9rocsparseL31bsrmm_large_blockdim_kernel_extILj32ELj32ELj2EllaaffEEvb20rocsparse_direction_T3_S2_llNS_24const_host_device_scalarIT7_EEPKT2_PKS2_PKT4_S2_PKT5_llS5_PT6_ll16rocsparse_order_21rocsparse_index_base_b
		.amdhsa_group_segment_fixed_size 12288
		.amdhsa_private_segment_fixed_size 0
		.amdhsa_kernarg_size 148
		.amdhsa_user_sgpr_count 2
		.amdhsa_user_sgpr_dispatch_ptr 0
		.amdhsa_user_sgpr_queue_ptr 0
		.amdhsa_user_sgpr_kernarg_segment_ptr 1
		.amdhsa_user_sgpr_dispatch_id 0
		.amdhsa_user_sgpr_kernarg_preload_length 0
		.amdhsa_user_sgpr_kernarg_preload_offset 0
		.amdhsa_user_sgpr_private_segment_size 0
		.amdhsa_uses_dynamic_stack 0
		.amdhsa_enable_private_segment 0
		.amdhsa_system_sgpr_workgroup_id_x 1
		.amdhsa_system_sgpr_workgroup_id_y 1
		.amdhsa_system_sgpr_workgroup_id_z 0
		.amdhsa_system_sgpr_workgroup_info 0
		.amdhsa_system_vgpr_workitem_id 1
		.amdhsa_next_free_vgpr 32
		.amdhsa_next_free_sgpr 48
		.amdhsa_accum_offset 32
		.amdhsa_reserve_vcc 1
		.amdhsa_float_round_mode_32 0
		.amdhsa_float_round_mode_16_64 0
		.amdhsa_float_denorm_mode_32 3
		.amdhsa_float_denorm_mode_16_64 3
		.amdhsa_dx10_clamp 1
		.amdhsa_ieee_mode 1
		.amdhsa_fp16_overflow 0
		.amdhsa_tg_split 0
		.amdhsa_exception_fp_ieee_invalid_op 0
		.amdhsa_exception_fp_denorm_src 0
		.amdhsa_exception_fp_ieee_div_zero 0
		.amdhsa_exception_fp_ieee_overflow 0
		.amdhsa_exception_fp_ieee_underflow 0
		.amdhsa_exception_fp_ieee_inexact 0
		.amdhsa_exception_int_div_zero 0
	.end_amdhsa_kernel
	.section	.text._ZN9rocsparseL31bsrmm_large_blockdim_kernel_extILj32ELj32ELj2EllaaffEEvb20rocsparse_direction_T3_S2_llNS_24const_host_device_scalarIT7_EEPKT2_PKS2_PKT4_S2_PKT5_llS5_PT6_ll16rocsparse_order_21rocsparse_index_base_b,"axG",@progbits,_ZN9rocsparseL31bsrmm_large_blockdim_kernel_extILj32ELj32ELj2EllaaffEEvb20rocsparse_direction_T3_S2_llNS_24const_host_device_scalarIT7_EEPKT2_PKS2_PKT4_S2_PKT5_llS5_PT6_ll16rocsparse_order_21rocsparse_index_base_b,comdat
.Lfunc_end83:
	.size	_ZN9rocsparseL31bsrmm_large_blockdim_kernel_extILj32ELj32ELj2EllaaffEEvb20rocsparse_direction_T3_S2_llNS_24const_host_device_scalarIT7_EEPKT2_PKS2_PKT4_S2_PKT5_llS5_PT6_ll16rocsparse_order_21rocsparse_index_base_b, .Lfunc_end83-_ZN9rocsparseL31bsrmm_large_blockdim_kernel_extILj32ELj32ELj2EllaaffEEvb20rocsparse_direction_T3_S2_llNS_24const_host_device_scalarIT7_EEPKT2_PKS2_PKT4_S2_PKT5_llS5_PT6_ll16rocsparse_order_21rocsparse_index_base_b
                                        ; -- End function
	.set _ZN9rocsparseL31bsrmm_large_blockdim_kernel_extILj32ELj32ELj2EllaaffEEvb20rocsparse_direction_T3_S2_llNS_24const_host_device_scalarIT7_EEPKT2_PKS2_PKT4_S2_PKT5_llS5_PT6_ll16rocsparse_order_21rocsparse_index_base_b.num_vgpr, 32
	.set _ZN9rocsparseL31bsrmm_large_blockdim_kernel_extILj32ELj32ELj2EllaaffEEvb20rocsparse_direction_T3_S2_llNS_24const_host_device_scalarIT7_EEPKT2_PKS2_PKT4_S2_PKT5_llS5_PT6_ll16rocsparse_order_21rocsparse_index_base_b.num_agpr, 0
	.set _ZN9rocsparseL31bsrmm_large_blockdim_kernel_extILj32ELj32ELj2EllaaffEEvb20rocsparse_direction_T3_S2_llNS_24const_host_device_scalarIT7_EEPKT2_PKS2_PKT4_S2_PKT5_llS5_PT6_ll16rocsparse_order_21rocsparse_index_base_b.numbered_sgpr, 48
	.set _ZN9rocsparseL31bsrmm_large_blockdim_kernel_extILj32ELj32ELj2EllaaffEEvb20rocsparse_direction_T3_S2_llNS_24const_host_device_scalarIT7_EEPKT2_PKS2_PKT4_S2_PKT5_llS5_PT6_ll16rocsparse_order_21rocsparse_index_base_b.num_named_barrier, 0
	.set _ZN9rocsparseL31bsrmm_large_blockdim_kernel_extILj32ELj32ELj2EllaaffEEvb20rocsparse_direction_T3_S2_llNS_24const_host_device_scalarIT7_EEPKT2_PKS2_PKT4_S2_PKT5_llS5_PT6_ll16rocsparse_order_21rocsparse_index_base_b.private_seg_size, 0
	.set _ZN9rocsparseL31bsrmm_large_blockdim_kernel_extILj32ELj32ELj2EllaaffEEvb20rocsparse_direction_T3_S2_llNS_24const_host_device_scalarIT7_EEPKT2_PKS2_PKT4_S2_PKT5_llS5_PT6_ll16rocsparse_order_21rocsparse_index_base_b.uses_vcc, 1
	.set _ZN9rocsparseL31bsrmm_large_blockdim_kernel_extILj32ELj32ELj2EllaaffEEvb20rocsparse_direction_T3_S2_llNS_24const_host_device_scalarIT7_EEPKT2_PKS2_PKT4_S2_PKT5_llS5_PT6_ll16rocsparse_order_21rocsparse_index_base_b.uses_flat_scratch, 0
	.set _ZN9rocsparseL31bsrmm_large_blockdim_kernel_extILj32ELj32ELj2EllaaffEEvb20rocsparse_direction_T3_S2_llNS_24const_host_device_scalarIT7_EEPKT2_PKS2_PKT4_S2_PKT5_llS5_PT6_ll16rocsparse_order_21rocsparse_index_base_b.has_dyn_sized_stack, 0
	.set _ZN9rocsparseL31bsrmm_large_blockdim_kernel_extILj32ELj32ELj2EllaaffEEvb20rocsparse_direction_T3_S2_llNS_24const_host_device_scalarIT7_EEPKT2_PKS2_PKT4_S2_PKT5_llS5_PT6_ll16rocsparse_order_21rocsparse_index_base_b.has_recursion, 0
	.set _ZN9rocsparseL31bsrmm_large_blockdim_kernel_extILj32ELj32ELj2EllaaffEEvb20rocsparse_direction_T3_S2_llNS_24const_host_device_scalarIT7_EEPKT2_PKS2_PKT4_S2_PKT5_llS5_PT6_ll16rocsparse_order_21rocsparse_index_base_b.has_indirect_call, 0
	.section	.AMDGPU.csdata,"",@progbits
; Kernel info:
; codeLenInByte = 1748
; TotalNumSgprs: 54
; NumVgprs: 32
; NumAgprs: 0
; TotalNumVgprs: 32
; ScratchSize: 0
; MemoryBound: 0
; FloatMode: 240
; IeeeMode: 1
; LDSByteSize: 12288 bytes/workgroup (compile time only)
; SGPRBlocks: 6
; VGPRBlocks: 3
; NumSGPRsForWavesPerEU: 54
; NumVGPRsForWavesPerEU: 32
; AccumOffset: 32
; Occupancy: 8
; WaveLimiterHint : 1
; COMPUTE_PGM_RSRC2:SCRATCH_EN: 0
; COMPUTE_PGM_RSRC2:USER_SGPR: 2
; COMPUTE_PGM_RSRC2:TRAP_HANDLER: 0
; COMPUTE_PGM_RSRC2:TGID_X_EN: 1
; COMPUTE_PGM_RSRC2:TGID_Y_EN: 1
; COMPUTE_PGM_RSRC2:TGID_Z_EN: 0
; COMPUTE_PGM_RSRC2:TIDIG_COMP_CNT: 1
; COMPUTE_PGM_RSRC3_GFX90A:ACCUM_OFFSET: 7
; COMPUTE_PGM_RSRC3_GFX90A:TG_SPLIT: 0
	.section	.AMDGPU.gpr_maximums,"",@progbits
	.set amdgpu.max_num_vgpr, 0
	.set amdgpu.max_num_agpr, 0
	.set amdgpu.max_num_sgpr, 0
	.section	.AMDGPU.csdata,"",@progbits
	.type	__hip_cuid_acad86f13833a973,@object ; @__hip_cuid_acad86f13833a973
	.section	.bss,"aw",@nobits
	.globl	__hip_cuid_acad86f13833a973
__hip_cuid_acad86f13833a973:
	.byte	0                               ; 0x0
	.size	__hip_cuid_acad86f13833a973, 1

	.ident	"AMD clang version 22.0.0git (https://github.com/RadeonOpenCompute/llvm-project roc-7.2.4 26084 f58b06dce1f9c15707c5f808fd002e18c2accf7e)"
	.section	".note.GNU-stack","",@progbits
	.addrsig
	.addrsig_sym __hip_cuid_acad86f13833a973
	.amdgpu_metadata
---
amdhsa.kernels:
  - .agpr_count:     0
    .args:
      - .offset:         0
        .size:           1
        .value_kind:     by_value
      - .offset:         4
        .size:           4
        .value_kind:     by_value
      - .offset:         8
        .size:           4
        .value_kind:     by_value
      - .offset:         12
        .size:           4
        .value_kind:     by_value
      - .offset:         16
        .size:           8
        .value_kind:     by_value
      - .offset:         24
        .size:           8
        .value_kind:     by_value
      - .offset:         32
        .size:           8
        .value_kind:     by_value
      - .actual_access:  read_only
        .address_space:  global
        .offset:         40
        .size:           8
        .value_kind:     global_buffer
      - .actual_access:  read_only
        .address_space:  global
        .offset:         48
        .size:           8
        .value_kind:     global_buffer
      - .actual_access:  read_only
        .address_space:  global
        .offset:         56
        .size:           8
        .value_kind:     global_buffer
      - .offset:         64
        .size:           4
        .value_kind:     by_value
      - .actual_access:  read_only
        .address_space:  global
        .offset:         72
        .size:           8
        .value_kind:     global_buffer
      - .offset:         80
        .size:           8
        .value_kind:     by_value
      - .offset:         88
        .size:           8
        .value_kind:     by_value
      - .offset:         96
        .size:           8
        .value_kind:     by_value
      - .address_space:  global
        .offset:         104
        .size:           8
        .value_kind:     global_buffer
      - .offset:         112
        .size:           8
        .value_kind:     by_value
      - .offset:         120
        .size:           8
        .value_kind:     by_value
      - .offset:         128
        .size:           4
        .value_kind:     by_value
      - .offset:         132
        .size:           4
        .value_kind:     by_value
      - .offset:         136
        .size:           1
        .value_kind:     by_value
    .group_segment_fixed_size: 768
    .kernarg_segment_align: 8
    .kernarg_segment_size: 140
    .language:       OpenCL C
    .language_version:
      - 2
      - 0
    .max_flat_workgroup_size: 64
    .name:           _ZN9rocsparseL31bsrmm_large_blockdim_kernel_extILj8ELj8ELj2EiiffffEEvb20rocsparse_direction_T3_S2_llNS_24const_host_device_scalarIT7_EEPKT2_PKS2_PKT4_S2_PKT5_llS5_PT6_ll16rocsparse_order_21rocsparse_index_base_b
    .private_segment_fixed_size: 0
    .sgpr_count:     46
    .sgpr_spill_count: 0
    .symbol:         _ZN9rocsparseL31bsrmm_large_blockdim_kernel_extILj8ELj8ELj2EiiffffEEvb20rocsparse_direction_T3_S2_llNS_24const_host_device_scalarIT7_EEPKT2_PKS2_PKT4_S2_PKT5_llS5_PT6_ll16rocsparse_order_21rocsparse_index_base_b.kd
    .uniform_work_group_size: 1
    .uses_dynamic_stack: false
    .vgpr_count:     26
    .vgpr_spill_count: 0
    .wavefront_size: 64
  - .agpr_count:     0
    .args:
      - .offset:         0
        .size:           1
        .value_kind:     by_value
      - .offset:         4
        .size:           4
        .value_kind:     by_value
      - .offset:         8
        .size:           4
        .value_kind:     by_value
      - .offset:         12
        .size:           4
        .value_kind:     by_value
      - .offset:         16
        .size:           8
        .value_kind:     by_value
      - .offset:         24
        .size:           8
        .value_kind:     by_value
      - .offset:         32
        .size:           8
        .value_kind:     by_value
      - .actual_access:  read_only
        .address_space:  global
        .offset:         40
        .size:           8
        .value_kind:     global_buffer
      - .actual_access:  read_only
        .address_space:  global
        .offset:         48
        .size:           8
        .value_kind:     global_buffer
      - .actual_access:  read_only
        .address_space:  global
        .offset:         56
        .size:           8
        .value_kind:     global_buffer
      - .offset:         64
        .size:           4
        .value_kind:     by_value
      - .actual_access:  read_only
        .address_space:  global
        .offset:         72
        .size:           8
        .value_kind:     global_buffer
      - .offset:         80
        .size:           8
        .value_kind:     by_value
      - .offset:         88
        .size:           8
        .value_kind:     by_value
      - .offset:         96
        .size:           8
        .value_kind:     by_value
      - .address_space:  global
        .offset:         104
        .size:           8
        .value_kind:     global_buffer
      - .offset:         112
        .size:           8
        .value_kind:     by_value
      - .offset:         120
        .size:           8
        .value_kind:     by_value
      - .offset:         128
        .size:           4
        .value_kind:     by_value
      - .offset:         132
        .size:           4
        .value_kind:     by_value
      - .offset:         136
        .size:           1
        .value_kind:     by_value
    .group_segment_fixed_size: 576
    .kernarg_segment_align: 8
    .kernarg_segment_size: 140
    .language:       OpenCL C
    .language_version:
      - 2
      - 0
    .max_flat_workgroup_size: 64
    .name:           _ZN9rocsparseL31bsrmm_large_blockdim_kernel_extILj4ELj16ELj2EiiffffEEvb20rocsparse_direction_T3_S2_llNS_24const_host_device_scalarIT7_EEPKT2_PKS2_PKT4_S2_PKT5_llS5_PT6_ll16rocsparse_order_21rocsparse_index_base_b
    .private_segment_fixed_size: 0
    .sgpr_count:     46
    .sgpr_spill_count: 0
    .symbol:         _ZN9rocsparseL31bsrmm_large_blockdim_kernel_extILj4ELj16ELj2EiiffffEEvb20rocsparse_direction_T3_S2_llNS_24const_host_device_scalarIT7_EEPKT2_PKS2_PKT4_S2_PKT5_llS5_PT6_ll16rocsparse_order_21rocsparse_index_base_b.kd
    .uniform_work_group_size: 1
    .uses_dynamic_stack: false
    .vgpr_count:     26
    .vgpr_spill_count: 0
    .wavefront_size: 64
  - .agpr_count:     0
    .args:
      - .offset:         0
        .size:           1
        .value_kind:     by_value
      - .offset:         4
        .size:           4
        .value_kind:     by_value
      - .offset:         8
        .size:           4
        .value_kind:     by_value
      - .offset:         12
        .size:           4
        .value_kind:     by_value
      - .offset:         16
        .size:           8
        .value_kind:     by_value
      - .offset:         24
        .size:           8
        .value_kind:     by_value
      - .offset:         32
        .size:           8
        .value_kind:     by_value
      - .actual_access:  read_only
        .address_space:  global
        .offset:         40
        .size:           8
        .value_kind:     global_buffer
      - .actual_access:  read_only
        .address_space:  global
        .offset:         48
        .size:           8
        .value_kind:     global_buffer
      - .actual_access:  read_only
        .address_space:  global
        .offset:         56
        .size:           8
        .value_kind:     global_buffer
      - .offset:         64
        .size:           4
        .value_kind:     by_value
      - .actual_access:  read_only
        .address_space:  global
        .offset:         72
        .size:           8
        .value_kind:     global_buffer
      - .offset:         80
        .size:           8
        .value_kind:     by_value
      - .offset:         88
        .size:           8
        .value_kind:     by_value
      - .offset:         96
        .size:           8
        .value_kind:     by_value
      - .address_space:  global
        .offset:         104
        .size:           8
        .value_kind:     global_buffer
      - .offset:         112
        .size:           8
        .value_kind:     by_value
      - .offset:         120
        .size:           8
        .value_kind:     by_value
      - .offset:         128
        .size:           4
        .value_kind:     by_value
      - .offset:         132
        .size:           4
        .value_kind:     by_value
      - .offset:         136
        .size:           1
        .value_kind:     by_value
    .group_segment_fixed_size: 3072
    .kernarg_segment_align: 8
    .kernarg_segment_size: 140
    .language:       OpenCL C
    .language_version:
      - 2
      - 0
    .max_flat_workgroup_size: 256
    .name:           _ZN9rocsparseL31bsrmm_large_blockdim_kernel_extILj16ELj16ELj2EiiffffEEvb20rocsparse_direction_T3_S2_llNS_24const_host_device_scalarIT7_EEPKT2_PKS2_PKT4_S2_PKT5_llS5_PT6_ll16rocsparse_order_21rocsparse_index_base_b
    .private_segment_fixed_size: 0
    .sgpr_count:     46
    .sgpr_spill_count: 0
    .symbol:         _ZN9rocsparseL31bsrmm_large_blockdim_kernel_extILj16ELj16ELj2EiiffffEEvb20rocsparse_direction_T3_S2_llNS_24const_host_device_scalarIT7_EEPKT2_PKS2_PKT4_S2_PKT5_llS5_PT6_ll16rocsparse_order_21rocsparse_index_base_b.kd
    .uniform_work_group_size: 1
    .uses_dynamic_stack: false
    .vgpr_count:     26
    .vgpr_spill_count: 0
    .wavefront_size: 64
  - .agpr_count:     0
    .args:
      - .offset:         0
        .size:           1
        .value_kind:     by_value
      - .offset:         4
        .size:           4
        .value_kind:     by_value
      - .offset:         8
        .size:           4
        .value_kind:     by_value
      - .offset:         12
        .size:           4
        .value_kind:     by_value
      - .offset:         16
        .size:           8
        .value_kind:     by_value
      - .offset:         24
        .size:           8
        .value_kind:     by_value
      - .offset:         32
        .size:           8
        .value_kind:     by_value
      - .actual_access:  read_only
        .address_space:  global
        .offset:         40
        .size:           8
        .value_kind:     global_buffer
      - .actual_access:  read_only
        .address_space:  global
        .offset:         48
        .size:           8
        .value_kind:     global_buffer
      - .actual_access:  read_only
        .address_space:  global
        .offset:         56
        .size:           8
        .value_kind:     global_buffer
      - .offset:         64
        .size:           4
        .value_kind:     by_value
      - .actual_access:  read_only
        .address_space:  global
        .offset:         72
        .size:           8
        .value_kind:     global_buffer
      - .offset:         80
        .size:           8
        .value_kind:     by_value
      - .offset:         88
        .size:           8
        .value_kind:     by_value
      - .offset:         96
        .size:           8
        .value_kind:     by_value
      - .address_space:  global
        .offset:         104
        .size:           8
        .value_kind:     global_buffer
      - .offset:         112
        .size:           8
        .value_kind:     by_value
      - .offset:         120
        .size:           8
        .value_kind:     by_value
      - .offset:         128
        .size:           4
        .value_kind:     by_value
      - .offset:         132
        .size:           4
        .value_kind:     by_value
      - .offset:         136
        .size:           1
        .value_kind:     by_value
    .group_segment_fixed_size: 12288
    .kernarg_segment_align: 8
    .kernarg_segment_size: 140
    .language:       OpenCL C
    .language_version:
      - 2
      - 0
    .max_flat_workgroup_size: 1024
    .name:           _ZN9rocsparseL31bsrmm_large_blockdim_kernel_extILj32ELj32ELj2EiiffffEEvb20rocsparse_direction_T3_S2_llNS_24const_host_device_scalarIT7_EEPKT2_PKS2_PKT4_S2_PKT5_llS5_PT6_ll16rocsparse_order_21rocsparse_index_base_b
    .private_segment_fixed_size: 0
    .sgpr_count:     46
    .sgpr_spill_count: 0
    .symbol:         _ZN9rocsparseL31bsrmm_large_blockdim_kernel_extILj32ELj32ELj2EiiffffEEvb20rocsparse_direction_T3_S2_llNS_24const_host_device_scalarIT7_EEPKT2_PKS2_PKT4_S2_PKT5_llS5_PT6_ll16rocsparse_order_21rocsparse_index_base_b.kd
    .uniform_work_group_size: 1
    .uses_dynamic_stack: false
    .vgpr_count:     26
    .vgpr_spill_count: 0
    .wavefront_size: 64
  - .agpr_count:     0
    .args:
      - .offset:         0
        .size:           1
        .value_kind:     by_value
      - .offset:         4
        .size:           4
        .value_kind:     by_value
      - .offset:         8
        .size:           4
        .value_kind:     by_value
      - .offset:         12
        .size:           4
        .value_kind:     by_value
      - .offset:         16
        .size:           8
        .value_kind:     by_value
      - .offset:         24
        .size:           8
        .value_kind:     by_value
      - .offset:         32
        .size:           8
        .value_kind:     by_value
      - .actual_access:  read_only
        .address_space:  global
        .offset:         40
        .size:           8
        .value_kind:     global_buffer
      - .actual_access:  read_only
        .address_space:  global
        .offset:         48
        .size:           8
        .value_kind:     global_buffer
      - .actual_access:  read_only
        .address_space:  global
        .offset:         56
        .size:           8
        .value_kind:     global_buffer
      - .offset:         64
        .size:           4
        .value_kind:     by_value
      - .actual_access:  read_only
        .address_space:  global
        .offset:         72
        .size:           8
        .value_kind:     global_buffer
      - .offset:         80
        .size:           8
        .value_kind:     by_value
      - .offset:         88
        .size:           8
        .value_kind:     by_value
      - .offset:         96
        .size:           8
        .value_kind:     by_value
      - .address_space:  global
        .offset:         104
        .size:           8
        .value_kind:     global_buffer
      - .offset:         112
        .size:           8
        .value_kind:     by_value
      - .offset:         120
        .size:           8
        .value_kind:     by_value
      - .offset:         128
        .size:           4
        .value_kind:     by_value
      - .offset:         132
        .size:           4
        .value_kind:     by_value
      - .offset:         136
        .size:           1
        .value_kind:     by_value
    .group_segment_fixed_size: 768
    .kernarg_segment_align: 8
    .kernarg_segment_size: 140
    .language:       OpenCL C
    .language_version:
      - 2
      - 0
    .max_flat_workgroup_size: 64
    .name:           _ZN9rocsparseL31bsrmm_large_blockdim_kernel_extILj8ELj8ELj2EliffffEEvb20rocsparse_direction_T3_S2_llNS_24const_host_device_scalarIT7_EEPKT2_PKS2_PKT4_S2_PKT5_llS5_PT6_ll16rocsparse_order_21rocsparse_index_base_b
    .private_segment_fixed_size: 0
    .sgpr_count:     48
    .sgpr_spill_count: 0
    .symbol:         _ZN9rocsparseL31bsrmm_large_blockdim_kernel_extILj8ELj8ELj2EliffffEEvb20rocsparse_direction_T3_S2_llNS_24const_host_device_scalarIT7_EEPKT2_PKS2_PKT4_S2_PKT5_llS5_PT6_ll16rocsparse_order_21rocsparse_index_base_b.kd
    .uniform_work_group_size: 1
    .uses_dynamic_stack: false
    .vgpr_count:     26
    .vgpr_spill_count: 0
    .wavefront_size: 64
  - .agpr_count:     0
    .args:
      - .offset:         0
        .size:           1
        .value_kind:     by_value
      - .offset:         4
        .size:           4
        .value_kind:     by_value
      - .offset:         8
        .size:           4
        .value_kind:     by_value
      - .offset:         12
        .size:           4
        .value_kind:     by_value
      - .offset:         16
        .size:           8
        .value_kind:     by_value
      - .offset:         24
        .size:           8
        .value_kind:     by_value
      - .offset:         32
        .size:           8
        .value_kind:     by_value
      - .actual_access:  read_only
        .address_space:  global
        .offset:         40
        .size:           8
        .value_kind:     global_buffer
      - .actual_access:  read_only
        .address_space:  global
        .offset:         48
        .size:           8
        .value_kind:     global_buffer
      - .actual_access:  read_only
        .address_space:  global
        .offset:         56
        .size:           8
        .value_kind:     global_buffer
      - .offset:         64
        .size:           4
        .value_kind:     by_value
      - .actual_access:  read_only
        .address_space:  global
        .offset:         72
        .size:           8
        .value_kind:     global_buffer
      - .offset:         80
        .size:           8
        .value_kind:     by_value
      - .offset:         88
        .size:           8
        .value_kind:     by_value
      - .offset:         96
        .size:           8
        .value_kind:     by_value
      - .address_space:  global
        .offset:         104
        .size:           8
        .value_kind:     global_buffer
      - .offset:         112
        .size:           8
        .value_kind:     by_value
      - .offset:         120
        .size:           8
        .value_kind:     by_value
      - .offset:         128
        .size:           4
        .value_kind:     by_value
      - .offset:         132
        .size:           4
        .value_kind:     by_value
      - .offset:         136
        .size:           1
        .value_kind:     by_value
    .group_segment_fixed_size: 576
    .kernarg_segment_align: 8
    .kernarg_segment_size: 140
    .language:       OpenCL C
    .language_version:
      - 2
      - 0
    .max_flat_workgroup_size: 64
    .name:           _ZN9rocsparseL31bsrmm_large_blockdim_kernel_extILj4ELj16ELj2EliffffEEvb20rocsparse_direction_T3_S2_llNS_24const_host_device_scalarIT7_EEPKT2_PKS2_PKT4_S2_PKT5_llS5_PT6_ll16rocsparse_order_21rocsparse_index_base_b
    .private_segment_fixed_size: 0
    .sgpr_count:     48
    .sgpr_spill_count: 0
    .symbol:         _ZN9rocsparseL31bsrmm_large_blockdim_kernel_extILj4ELj16ELj2EliffffEEvb20rocsparse_direction_T3_S2_llNS_24const_host_device_scalarIT7_EEPKT2_PKS2_PKT4_S2_PKT5_llS5_PT6_ll16rocsparse_order_21rocsparse_index_base_b.kd
    .uniform_work_group_size: 1
    .uses_dynamic_stack: false
    .vgpr_count:     26
    .vgpr_spill_count: 0
    .wavefront_size: 64
  - .agpr_count:     0
    .args:
      - .offset:         0
        .size:           1
        .value_kind:     by_value
      - .offset:         4
        .size:           4
        .value_kind:     by_value
      - .offset:         8
        .size:           4
        .value_kind:     by_value
      - .offset:         12
        .size:           4
        .value_kind:     by_value
      - .offset:         16
        .size:           8
        .value_kind:     by_value
      - .offset:         24
        .size:           8
        .value_kind:     by_value
      - .offset:         32
        .size:           8
        .value_kind:     by_value
      - .actual_access:  read_only
        .address_space:  global
        .offset:         40
        .size:           8
        .value_kind:     global_buffer
      - .actual_access:  read_only
        .address_space:  global
        .offset:         48
        .size:           8
        .value_kind:     global_buffer
      - .actual_access:  read_only
        .address_space:  global
        .offset:         56
        .size:           8
        .value_kind:     global_buffer
      - .offset:         64
        .size:           4
        .value_kind:     by_value
      - .actual_access:  read_only
        .address_space:  global
        .offset:         72
        .size:           8
        .value_kind:     global_buffer
      - .offset:         80
        .size:           8
        .value_kind:     by_value
      - .offset:         88
        .size:           8
        .value_kind:     by_value
      - .offset:         96
        .size:           8
        .value_kind:     by_value
      - .address_space:  global
        .offset:         104
        .size:           8
        .value_kind:     global_buffer
      - .offset:         112
        .size:           8
        .value_kind:     by_value
      - .offset:         120
        .size:           8
        .value_kind:     by_value
      - .offset:         128
        .size:           4
        .value_kind:     by_value
      - .offset:         132
        .size:           4
        .value_kind:     by_value
      - .offset:         136
        .size:           1
        .value_kind:     by_value
    .group_segment_fixed_size: 3072
    .kernarg_segment_align: 8
    .kernarg_segment_size: 140
    .language:       OpenCL C
    .language_version:
      - 2
      - 0
    .max_flat_workgroup_size: 256
    .name:           _ZN9rocsparseL31bsrmm_large_blockdim_kernel_extILj16ELj16ELj2EliffffEEvb20rocsparse_direction_T3_S2_llNS_24const_host_device_scalarIT7_EEPKT2_PKS2_PKT4_S2_PKT5_llS5_PT6_ll16rocsparse_order_21rocsparse_index_base_b
    .private_segment_fixed_size: 0
    .sgpr_count:     48
    .sgpr_spill_count: 0
    .symbol:         _ZN9rocsparseL31bsrmm_large_blockdim_kernel_extILj16ELj16ELj2EliffffEEvb20rocsparse_direction_T3_S2_llNS_24const_host_device_scalarIT7_EEPKT2_PKS2_PKT4_S2_PKT5_llS5_PT6_ll16rocsparse_order_21rocsparse_index_base_b.kd
    .uniform_work_group_size: 1
    .uses_dynamic_stack: false
    .vgpr_count:     26
    .vgpr_spill_count: 0
    .wavefront_size: 64
  - .agpr_count:     0
    .args:
      - .offset:         0
        .size:           1
        .value_kind:     by_value
      - .offset:         4
        .size:           4
        .value_kind:     by_value
      - .offset:         8
        .size:           4
        .value_kind:     by_value
      - .offset:         12
        .size:           4
        .value_kind:     by_value
      - .offset:         16
        .size:           8
        .value_kind:     by_value
      - .offset:         24
        .size:           8
        .value_kind:     by_value
      - .offset:         32
        .size:           8
        .value_kind:     by_value
      - .actual_access:  read_only
        .address_space:  global
        .offset:         40
        .size:           8
        .value_kind:     global_buffer
      - .actual_access:  read_only
        .address_space:  global
        .offset:         48
        .size:           8
        .value_kind:     global_buffer
      - .actual_access:  read_only
        .address_space:  global
        .offset:         56
        .size:           8
        .value_kind:     global_buffer
      - .offset:         64
        .size:           4
        .value_kind:     by_value
      - .actual_access:  read_only
        .address_space:  global
        .offset:         72
        .size:           8
        .value_kind:     global_buffer
      - .offset:         80
        .size:           8
        .value_kind:     by_value
      - .offset:         88
        .size:           8
        .value_kind:     by_value
      - .offset:         96
        .size:           8
        .value_kind:     by_value
      - .address_space:  global
        .offset:         104
        .size:           8
        .value_kind:     global_buffer
      - .offset:         112
        .size:           8
        .value_kind:     by_value
      - .offset:         120
        .size:           8
        .value_kind:     by_value
      - .offset:         128
        .size:           4
        .value_kind:     by_value
      - .offset:         132
        .size:           4
        .value_kind:     by_value
      - .offset:         136
        .size:           1
        .value_kind:     by_value
    .group_segment_fixed_size: 12288
    .kernarg_segment_align: 8
    .kernarg_segment_size: 140
    .language:       OpenCL C
    .language_version:
      - 2
      - 0
    .max_flat_workgroup_size: 1024
    .name:           _ZN9rocsparseL31bsrmm_large_blockdim_kernel_extILj32ELj32ELj2EliffffEEvb20rocsparse_direction_T3_S2_llNS_24const_host_device_scalarIT7_EEPKT2_PKS2_PKT4_S2_PKT5_llS5_PT6_ll16rocsparse_order_21rocsparse_index_base_b
    .private_segment_fixed_size: 0
    .sgpr_count:     48
    .sgpr_spill_count: 0
    .symbol:         _ZN9rocsparseL31bsrmm_large_blockdim_kernel_extILj32ELj32ELj2EliffffEEvb20rocsparse_direction_T3_S2_llNS_24const_host_device_scalarIT7_EEPKT2_PKS2_PKT4_S2_PKT5_llS5_PT6_ll16rocsparse_order_21rocsparse_index_base_b.kd
    .uniform_work_group_size: 1
    .uses_dynamic_stack: false
    .vgpr_count:     28
    .vgpr_spill_count: 0
    .wavefront_size: 64
  - .agpr_count:     0
    .args:
      - .offset:         0
        .size:           1
        .value_kind:     by_value
      - .offset:         4
        .size:           4
        .value_kind:     by_value
      - .offset:         8
        .size:           8
        .value_kind:     by_value
      - .offset:         16
        .size:           8
        .value_kind:     by_value
      - .offset:         24
        .size:           8
        .value_kind:     by_value
      - .offset:         32
        .size:           8
        .value_kind:     by_value
      - .offset:         40
        .size:           8
        .value_kind:     by_value
      - .actual_access:  read_only
        .address_space:  global
        .offset:         48
        .size:           8
        .value_kind:     global_buffer
      - .actual_access:  read_only
        .address_space:  global
        .offset:         56
        .size:           8
        .value_kind:     global_buffer
      - .actual_access:  read_only
        .address_space:  global
        .offset:         64
        .size:           8
        .value_kind:     global_buffer
      - .offset:         72
        .size:           8
        .value_kind:     by_value
      - .actual_access:  read_only
        .address_space:  global
        .offset:         80
        .size:           8
        .value_kind:     global_buffer
      - .offset:         88
        .size:           8
        .value_kind:     by_value
      - .offset:         96
        .size:           8
        .value_kind:     by_value
      - .offset:         104
        .size:           8
        .value_kind:     by_value
      - .address_space:  global
        .offset:         112
        .size:           8
        .value_kind:     global_buffer
      - .offset:         120
        .size:           8
        .value_kind:     by_value
      - .offset:         128
        .size:           8
        .value_kind:     by_value
      - .offset:         136
        .size:           4
        .value_kind:     by_value
      - .offset:         140
        .size:           4
        .value_kind:     by_value
      - .offset:         144
        .size:           1
        .value_kind:     by_value
    .group_segment_fixed_size: 768
    .kernarg_segment_align: 8
    .kernarg_segment_size: 148
    .language:       OpenCL C
    .language_version:
      - 2
      - 0
    .max_flat_workgroup_size: 64
    .name:           _ZN9rocsparseL31bsrmm_large_blockdim_kernel_extILj8ELj8ELj2EllffffEEvb20rocsparse_direction_T3_S2_llNS_24const_host_device_scalarIT7_EEPKT2_PKS2_PKT4_S2_PKT5_llS5_PT6_ll16rocsparse_order_21rocsparse_index_base_b
    .private_segment_fixed_size: 0
    .sgpr_count:     56
    .sgpr_spill_count: 0
    .symbol:         _ZN9rocsparseL31bsrmm_large_blockdim_kernel_extILj8ELj8ELj2EllffffEEvb20rocsparse_direction_T3_S2_llNS_24const_host_device_scalarIT7_EEPKT2_PKS2_PKT4_S2_PKT5_llS5_PT6_ll16rocsparse_order_21rocsparse_index_base_b.kd
    .uniform_work_group_size: 1
    .uses_dynamic_stack: false
    .vgpr_count:     30
    .vgpr_spill_count: 0
    .wavefront_size: 64
  - .agpr_count:     0
    .args:
      - .offset:         0
        .size:           1
        .value_kind:     by_value
      - .offset:         4
        .size:           4
        .value_kind:     by_value
      - .offset:         8
        .size:           8
        .value_kind:     by_value
      - .offset:         16
        .size:           8
        .value_kind:     by_value
      - .offset:         24
        .size:           8
        .value_kind:     by_value
      - .offset:         32
        .size:           8
        .value_kind:     by_value
      - .offset:         40
        .size:           8
        .value_kind:     by_value
      - .actual_access:  read_only
        .address_space:  global
        .offset:         48
        .size:           8
        .value_kind:     global_buffer
      - .actual_access:  read_only
        .address_space:  global
        .offset:         56
        .size:           8
        .value_kind:     global_buffer
      - .actual_access:  read_only
        .address_space:  global
        .offset:         64
        .size:           8
        .value_kind:     global_buffer
      - .offset:         72
        .size:           8
        .value_kind:     by_value
      - .actual_access:  read_only
        .address_space:  global
        .offset:         80
        .size:           8
        .value_kind:     global_buffer
      - .offset:         88
        .size:           8
        .value_kind:     by_value
      - .offset:         96
        .size:           8
        .value_kind:     by_value
      - .offset:         104
        .size:           8
        .value_kind:     by_value
      - .address_space:  global
        .offset:         112
        .size:           8
        .value_kind:     global_buffer
      - .offset:         120
        .size:           8
        .value_kind:     by_value
      - .offset:         128
        .size:           8
        .value_kind:     by_value
      - .offset:         136
        .size:           4
        .value_kind:     by_value
      - .offset:         140
        .size:           4
        .value_kind:     by_value
      - .offset:         144
        .size:           1
        .value_kind:     by_value
    .group_segment_fixed_size: 576
    .kernarg_segment_align: 8
    .kernarg_segment_size: 148
    .language:       OpenCL C
    .language_version:
      - 2
      - 0
    .max_flat_workgroup_size: 64
    .name:           _ZN9rocsparseL31bsrmm_large_blockdim_kernel_extILj4ELj16ELj2EllffffEEvb20rocsparse_direction_T3_S2_llNS_24const_host_device_scalarIT7_EEPKT2_PKS2_PKT4_S2_PKT5_llS5_PT6_ll16rocsparse_order_21rocsparse_index_base_b
    .private_segment_fixed_size: 0
    .sgpr_count:     56
    .sgpr_spill_count: 0
    .symbol:         _ZN9rocsparseL31bsrmm_large_blockdim_kernel_extILj4ELj16ELj2EllffffEEvb20rocsparse_direction_T3_S2_llNS_24const_host_device_scalarIT7_EEPKT2_PKS2_PKT4_S2_PKT5_llS5_PT6_ll16rocsparse_order_21rocsparse_index_base_b.kd
    .uniform_work_group_size: 1
    .uses_dynamic_stack: false
    .vgpr_count:     30
    .vgpr_spill_count: 0
    .wavefront_size: 64
  - .agpr_count:     0
    .args:
      - .offset:         0
        .size:           1
        .value_kind:     by_value
      - .offset:         4
        .size:           4
        .value_kind:     by_value
      - .offset:         8
        .size:           8
        .value_kind:     by_value
      - .offset:         16
        .size:           8
        .value_kind:     by_value
      - .offset:         24
        .size:           8
        .value_kind:     by_value
      - .offset:         32
        .size:           8
        .value_kind:     by_value
      - .offset:         40
        .size:           8
        .value_kind:     by_value
      - .actual_access:  read_only
        .address_space:  global
        .offset:         48
        .size:           8
        .value_kind:     global_buffer
      - .actual_access:  read_only
        .address_space:  global
        .offset:         56
        .size:           8
        .value_kind:     global_buffer
      - .actual_access:  read_only
        .address_space:  global
        .offset:         64
        .size:           8
        .value_kind:     global_buffer
      - .offset:         72
        .size:           8
        .value_kind:     by_value
      - .actual_access:  read_only
        .address_space:  global
        .offset:         80
        .size:           8
        .value_kind:     global_buffer
      - .offset:         88
        .size:           8
        .value_kind:     by_value
      - .offset:         96
        .size:           8
        .value_kind:     by_value
      - .offset:         104
        .size:           8
        .value_kind:     by_value
      - .address_space:  global
        .offset:         112
        .size:           8
        .value_kind:     global_buffer
      - .offset:         120
        .size:           8
        .value_kind:     by_value
      - .offset:         128
        .size:           8
        .value_kind:     by_value
      - .offset:         136
        .size:           4
        .value_kind:     by_value
      - .offset:         140
        .size:           4
        .value_kind:     by_value
      - .offset:         144
        .size:           1
        .value_kind:     by_value
    .group_segment_fixed_size: 3072
    .kernarg_segment_align: 8
    .kernarg_segment_size: 148
    .language:       OpenCL C
    .language_version:
      - 2
      - 0
    .max_flat_workgroup_size: 256
    .name:           _ZN9rocsparseL31bsrmm_large_blockdim_kernel_extILj16ELj16ELj2EllffffEEvb20rocsparse_direction_T3_S2_llNS_24const_host_device_scalarIT7_EEPKT2_PKS2_PKT4_S2_PKT5_llS5_PT6_ll16rocsparse_order_21rocsparse_index_base_b
    .private_segment_fixed_size: 0
    .sgpr_count:     56
    .sgpr_spill_count: 0
    .symbol:         _ZN9rocsparseL31bsrmm_large_blockdim_kernel_extILj16ELj16ELj2EllffffEEvb20rocsparse_direction_T3_S2_llNS_24const_host_device_scalarIT7_EEPKT2_PKS2_PKT4_S2_PKT5_llS5_PT6_ll16rocsparse_order_21rocsparse_index_base_b.kd
    .uniform_work_group_size: 1
    .uses_dynamic_stack: false
    .vgpr_count:     30
    .vgpr_spill_count: 0
    .wavefront_size: 64
  - .agpr_count:     0
    .args:
      - .offset:         0
        .size:           1
        .value_kind:     by_value
      - .offset:         4
        .size:           4
        .value_kind:     by_value
      - .offset:         8
        .size:           8
        .value_kind:     by_value
      - .offset:         16
        .size:           8
        .value_kind:     by_value
      - .offset:         24
        .size:           8
        .value_kind:     by_value
      - .offset:         32
        .size:           8
        .value_kind:     by_value
      - .offset:         40
        .size:           8
        .value_kind:     by_value
      - .actual_access:  read_only
        .address_space:  global
        .offset:         48
        .size:           8
        .value_kind:     global_buffer
      - .actual_access:  read_only
        .address_space:  global
        .offset:         56
        .size:           8
        .value_kind:     global_buffer
      - .actual_access:  read_only
        .address_space:  global
        .offset:         64
        .size:           8
        .value_kind:     global_buffer
      - .offset:         72
        .size:           8
        .value_kind:     by_value
      - .actual_access:  read_only
        .address_space:  global
        .offset:         80
        .size:           8
        .value_kind:     global_buffer
      - .offset:         88
        .size:           8
        .value_kind:     by_value
      - .offset:         96
        .size:           8
        .value_kind:     by_value
      - .offset:         104
        .size:           8
        .value_kind:     by_value
      - .address_space:  global
        .offset:         112
        .size:           8
        .value_kind:     global_buffer
      - .offset:         120
        .size:           8
        .value_kind:     by_value
      - .offset:         128
        .size:           8
        .value_kind:     by_value
      - .offset:         136
        .size:           4
        .value_kind:     by_value
      - .offset:         140
        .size:           4
        .value_kind:     by_value
      - .offset:         144
        .size:           1
        .value_kind:     by_value
    .group_segment_fixed_size: 12288
    .kernarg_segment_align: 8
    .kernarg_segment_size: 148
    .language:       OpenCL C
    .language_version:
      - 2
      - 0
    .max_flat_workgroup_size: 1024
    .name:           _ZN9rocsparseL31bsrmm_large_blockdim_kernel_extILj32ELj32ELj2EllffffEEvb20rocsparse_direction_T3_S2_llNS_24const_host_device_scalarIT7_EEPKT2_PKS2_PKT4_S2_PKT5_llS5_PT6_ll16rocsparse_order_21rocsparse_index_base_b
    .private_segment_fixed_size: 0
    .sgpr_count:     54
    .sgpr_spill_count: 0
    .symbol:         _ZN9rocsparseL31bsrmm_large_blockdim_kernel_extILj32ELj32ELj2EllffffEEvb20rocsparse_direction_T3_S2_llNS_24const_host_device_scalarIT7_EEPKT2_PKS2_PKT4_S2_PKT5_llS5_PT6_ll16rocsparse_order_21rocsparse_index_base_b.kd
    .uniform_work_group_size: 1
    .uses_dynamic_stack: false
    .vgpr_count:     32
    .vgpr_spill_count: 0
    .wavefront_size: 64
  - .agpr_count:     0
    .args:
      - .offset:         0
        .size:           1
        .value_kind:     by_value
      - .offset:         4
        .size:           4
        .value_kind:     by_value
      - .offset:         8
        .size:           4
        .value_kind:     by_value
      - .offset:         12
        .size:           4
        .value_kind:     by_value
      - .offset:         16
        .size:           8
        .value_kind:     by_value
      - .offset:         24
        .size:           8
        .value_kind:     by_value
      - .offset:         32
        .size:           8
        .value_kind:     by_value
      - .actual_access:  read_only
        .address_space:  global
        .offset:         40
        .size:           8
        .value_kind:     global_buffer
      - .actual_access:  read_only
        .address_space:  global
        .offset:         48
        .size:           8
        .value_kind:     global_buffer
      - .actual_access:  read_only
        .address_space:  global
        .offset:         56
        .size:           8
        .value_kind:     global_buffer
      - .offset:         64
        .size:           4
        .value_kind:     by_value
      - .actual_access:  read_only
        .address_space:  global
        .offset:         72
        .size:           8
        .value_kind:     global_buffer
      - .offset:         80
        .size:           8
        .value_kind:     by_value
      - .offset:         88
        .size:           8
        .value_kind:     by_value
      - .offset:         96
        .size:           8
        .value_kind:     by_value
      - .address_space:  global
        .offset:         104
        .size:           8
        .value_kind:     global_buffer
      - .offset:         112
        .size:           8
        .value_kind:     by_value
      - .offset:         120
        .size:           8
        .value_kind:     by_value
      - .offset:         128
        .size:           4
        .value_kind:     by_value
      - .offset:         132
        .size:           4
        .value_kind:     by_value
      - .offset:         136
        .size:           1
        .value_kind:     by_value
    .group_segment_fixed_size: 1536
    .kernarg_segment_align: 8
    .kernarg_segment_size: 140
    .language:       OpenCL C
    .language_version:
      - 2
      - 0
    .max_flat_workgroup_size: 64
    .name:           _ZN9rocsparseL31bsrmm_large_blockdim_kernel_extILj8ELj8ELj2EiiddddEEvb20rocsparse_direction_T3_S2_llNS_24const_host_device_scalarIT7_EEPKT2_PKS2_PKT4_S2_PKT5_llS5_PT6_ll16rocsparse_order_21rocsparse_index_base_b
    .private_segment_fixed_size: 0
    .sgpr_count:     42
    .sgpr_spill_count: 0
    .symbol:         _ZN9rocsparseL31bsrmm_large_blockdim_kernel_extILj8ELj8ELj2EiiddddEEvb20rocsparse_direction_T3_S2_llNS_24const_host_device_scalarIT7_EEPKT2_PKS2_PKT4_S2_PKT5_llS5_PT6_ll16rocsparse_order_21rocsparse_index_base_b.kd
    .uniform_work_group_size: 1
    .uses_dynamic_stack: false
    .vgpr_count:     32
    .vgpr_spill_count: 0
    .wavefront_size: 64
  - .agpr_count:     0
    .args:
      - .offset:         0
        .size:           1
        .value_kind:     by_value
      - .offset:         4
        .size:           4
        .value_kind:     by_value
      - .offset:         8
        .size:           4
        .value_kind:     by_value
      - .offset:         12
        .size:           4
        .value_kind:     by_value
      - .offset:         16
        .size:           8
        .value_kind:     by_value
      - .offset:         24
        .size:           8
        .value_kind:     by_value
      - .offset:         32
        .size:           8
        .value_kind:     by_value
      - .actual_access:  read_only
        .address_space:  global
        .offset:         40
        .size:           8
        .value_kind:     global_buffer
      - .actual_access:  read_only
        .address_space:  global
        .offset:         48
        .size:           8
        .value_kind:     global_buffer
      - .actual_access:  read_only
        .address_space:  global
        .offset:         56
        .size:           8
        .value_kind:     global_buffer
      - .offset:         64
        .size:           4
        .value_kind:     by_value
      - .actual_access:  read_only
        .address_space:  global
        .offset:         72
        .size:           8
        .value_kind:     global_buffer
      - .offset:         80
        .size:           8
        .value_kind:     by_value
      - .offset:         88
        .size:           8
        .value_kind:     by_value
      - .offset:         96
        .size:           8
        .value_kind:     by_value
      - .address_space:  global
        .offset:         104
        .size:           8
        .value_kind:     global_buffer
      - .offset:         112
        .size:           8
        .value_kind:     by_value
      - .offset:         120
        .size:           8
        .value_kind:     by_value
      - .offset:         128
        .size:           4
        .value_kind:     by_value
      - .offset:         132
        .size:           4
        .value_kind:     by_value
      - .offset:         136
        .size:           1
        .value_kind:     by_value
    .group_segment_fixed_size: 1152
    .kernarg_segment_align: 8
    .kernarg_segment_size: 140
    .language:       OpenCL C
    .language_version:
      - 2
      - 0
    .max_flat_workgroup_size: 64
    .name:           _ZN9rocsparseL31bsrmm_large_blockdim_kernel_extILj4ELj16ELj2EiiddddEEvb20rocsparse_direction_T3_S2_llNS_24const_host_device_scalarIT7_EEPKT2_PKS2_PKT4_S2_PKT5_llS5_PT6_ll16rocsparse_order_21rocsparse_index_base_b
    .private_segment_fixed_size: 0
    .sgpr_count:     42
    .sgpr_spill_count: 0
    .symbol:         _ZN9rocsparseL31bsrmm_large_blockdim_kernel_extILj4ELj16ELj2EiiddddEEvb20rocsparse_direction_T3_S2_llNS_24const_host_device_scalarIT7_EEPKT2_PKS2_PKT4_S2_PKT5_llS5_PT6_ll16rocsparse_order_21rocsparse_index_base_b.kd
    .uniform_work_group_size: 1
    .uses_dynamic_stack: false
    .vgpr_count:     32
    .vgpr_spill_count: 0
    .wavefront_size: 64
  - .agpr_count:     0
    .args:
      - .offset:         0
        .size:           1
        .value_kind:     by_value
      - .offset:         4
        .size:           4
        .value_kind:     by_value
      - .offset:         8
        .size:           4
        .value_kind:     by_value
      - .offset:         12
        .size:           4
        .value_kind:     by_value
      - .offset:         16
        .size:           8
        .value_kind:     by_value
      - .offset:         24
        .size:           8
        .value_kind:     by_value
      - .offset:         32
        .size:           8
        .value_kind:     by_value
      - .actual_access:  read_only
        .address_space:  global
        .offset:         40
        .size:           8
        .value_kind:     global_buffer
      - .actual_access:  read_only
        .address_space:  global
        .offset:         48
        .size:           8
        .value_kind:     global_buffer
      - .actual_access:  read_only
        .address_space:  global
        .offset:         56
        .size:           8
        .value_kind:     global_buffer
      - .offset:         64
        .size:           4
        .value_kind:     by_value
      - .actual_access:  read_only
        .address_space:  global
        .offset:         72
        .size:           8
        .value_kind:     global_buffer
      - .offset:         80
        .size:           8
        .value_kind:     by_value
      - .offset:         88
        .size:           8
        .value_kind:     by_value
      - .offset:         96
        .size:           8
        .value_kind:     by_value
      - .address_space:  global
        .offset:         104
        .size:           8
        .value_kind:     global_buffer
      - .offset:         112
        .size:           8
        .value_kind:     by_value
      - .offset:         120
        .size:           8
        .value_kind:     by_value
      - .offset:         128
        .size:           4
        .value_kind:     by_value
      - .offset:         132
        .size:           4
        .value_kind:     by_value
      - .offset:         136
        .size:           1
        .value_kind:     by_value
    .group_segment_fixed_size: 6144
    .kernarg_segment_align: 8
    .kernarg_segment_size: 140
    .language:       OpenCL C
    .language_version:
      - 2
      - 0
    .max_flat_workgroup_size: 256
    .name:           _ZN9rocsparseL31bsrmm_large_blockdim_kernel_extILj16ELj16ELj2EiiddddEEvb20rocsparse_direction_T3_S2_llNS_24const_host_device_scalarIT7_EEPKT2_PKS2_PKT4_S2_PKT5_llS5_PT6_ll16rocsparse_order_21rocsparse_index_base_b
    .private_segment_fixed_size: 0
    .sgpr_count:     42
    .sgpr_spill_count: 0
    .symbol:         _ZN9rocsparseL31bsrmm_large_blockdim_kernel_extILj16ELj16ELj2EiiddddEEvb20rocsparse_direction_T3_S2_llNS_24const_host_device_scalarIT7_EEPKT2_PKS2_PKT4_S2_PKT5_llS5_PT6_ll16rocsparse_order_21rocsparse_index_base_b.kd
    .uniform_work_group_size: 1
    .uses_dynamic_stack: false
    .vgpr_count:     32
    .vgpr_spill_count: 0
    .wavefront_size: 64
  - .agpr_count:     0
    .args:
      - .offset:         0
        .size:           1
        .value_kind:     by_value
      - .offset:         4
        .size:           4
        .value_kind:     by_value
      - .offset:         8
        .size:           4
        .value_kind:     by_value
      - .offset:         12
        .size:           4
        .value_kind:     by_value
      - .offset:         16
        .size:           8
        .value_kind:     by_value
      - .offset:         24
        .size:           8
        .value_kind:     by_value
      - .offset:         32
        .size:           8
        .value_kind:     by_value
      - .actual_access:  read_only
        .address_space:  global
        .offset:         40
        .size:           8
        .value_kind:     global_buffer
      - .actual_access:  read_only
        .address_space:  global
        .offset:         48
        .size:           8
        .value_kind:     global_buffer
      - .actual_access:  read_only
        .address_space:  global
        .offset:         56
        .size:           8
        .value_kind:     global_buffer
      - .offset:         64
        .size:           4
        .value_kind:     by_value
      - .actual_access:  read_only
        .address_space:  global
        .offset:         72
        .size:           8
        .value_kind:     global_buffer
      - .offset:         80
        .size:           8
        .value_kind:     by_value
      - .offset:         88
        .size:           8
        .value_kind:     by_value
      - .offset:         96
        .size:           8
        .value_kind:     by_value
      - .address_space:  global
        .offset:         104
        .size:           8
        .value_kind:     global_buffer
      - .offset:         112
        .size:           8
        .value_kind:     by_value
      - .offset:         120
        .size:           8
        .value_kind:     by_value
      - .offset:         128
        .size:           4
        .value_kind:     by_value
      - .offset:         132
        .size:           4
        .value_kind:     by_value
      - .offset:         136
        .size:           1
        .value_kind:     by_value
    .group_segment_fixed_size: 24576
    .kernarg_segment_align: 8
    .kernarg_segment_size: 140
    .language:       OpenCL C
    .language_version:
      - 2
      - 0
    .max_flat_workgroup_size: 1024
    .name:           _ZN9rocsparseL31bsrmm_large_blockdim_kernel_extILj32ELj32ELj2EiiddddEEvb20rocsparse_direction_T3_S2_llNS_24const_host_device_scalarIT7_EEPKT2_PKS2_PKT4_S2_PKT5_llS5_PT6_ll16rocsparse_order_21rocsparse_index_base_b
    .private_segment_fixed_size: 0
    .sgpr_count:     42
    .sgpr_spill_count: 0
    .symbol:         _ZN9rocsparseL31bsrmm_large_blockdim_kernel_extILj32ELj32ELj2EiiddddEEvb20rocsparse_direction_T3_S2_llNS_24const_host_device_scalarIT7_EEPKT2_PKS2_PKT4_S2_PKT5_llS5_PT6_ll16rocsparse_order_21rocsparse_index_base_b.kd
    .uniform_work_group_size: 1
    .uses_dynamic_stack: false
    .vgpr_count:     32
    .vgpr_spill_count: 0
    .wavefront_size: 64
  - .agpr_count:     0
    .args:
      - .offset:         0
        .size:           1
        .value_kind:     by_value
      - .offset:         4
        .size:           4
        .value_kind:     by_value
      - .offset:         8
        .size:           4
        .value_kind:     by_value
      - .offset:         12
        .size:           4
        .value_kind:     by_value
      - .offset:         16
        .size:           8
        .value_kind:     by_value
      - .offset:         24
        .size:           8
        .value_kind:     by_value
      - .offset:         32
        .size:           8
        .value_kind:     by_value
      - .actual_access:  read_only
        .address_space:  global
        .offset:         40
        .size:           8
        .value_kind:     global_buffer
      - .actual_access:  read_only
        .address_space:  global
        .offset:         48
        .size:           8
        .value_kind:     global_buffer
      - .actual_access:  read_only
        .address_space:  global
        .offset:         56
        .size:           8
        .value_kind:     global_buffer
      - .offset:         64
        .size:           4
        .value_kind:     by_value
      - .actual_access:  read_only
        .address_space:  global
        .offset:         72
        .size:           8
        .value_kind:     global_buffer
      - .offset:         80
        .size:           8
        .value_kind:     by_value
      - .offset:         88
        .size:           8
        .value_kind:     by_value
      - .offset:         96
        .size:           8
        .value_kind:     by_value
      - .address_space:  global
        .offset:         104
        .size:           8
        .value_kind:     global_buffer
      - .offset:         112
        .size:           8
        .value_kind:     by_value
      - .offset:         120
        .size:           8
        .value_kind:     by_value
      - .offset:         128
        .size:           4
        .value_kind:     by_value
      - .offset:         132
        .size:           4
        .value_kind:     by_value
      - .offset:         136
        .size:           1
        .value_kind:     by_value
    .group_segment_fixed_size: 1536
    .kernarg_segment_align: 8
    .kernarg_segment_size: 140
    .language:       OpenCL C
    .language_version:
      - 2
      - 0
    .max_flat_workgroup_size: 64
    .name:           _ZN9rocsparseL31bsrmm_large_blockdim_kernel_extILj8ELj8ELj2EliddddEEvb20rocsparse_direction_T3_S2_llNS_24const_host_device_scalarIT7_EEPKT2_PKS2_PKT4_S2_PKT5_llS5_PT6_ll16rocsparse_order_21rocsparse_index_base_b
    .private_segment_fixed_size: 0
    .sgpr_count:     44
    .sgpr_spill_count: 0
    .symbol:         _ZN9rocsparseL31bsrmm_large_blockdim_kernel_extILj8ELj8ELj2EliddddEEvb20rocsparse_direction_T3_S2_llNS_24const_host_device_scalarIT7_EEPKT2_PKS2_PKT4_S2_PKT5_llS5_PT6_ll16rocsparse_order_21rocsparse_index_base_b.kd
    .uniform_work_group_size: 1
    .uses_dynamic_stack: false
    .vgpr_count:     32
    .vgpr_spill_count: 0
    .wavefront_size: 64
  - .agpr_count:     0
    .args:
      - .offset:         0
        .size:           1
        .value_kind:     by_value
      - .offset:         4
        .size:           4
        .value_kind:     by_value
      - .offset:         8
        .size:           4
        .value_kind:     by_value
      - .offset:         12
        .size:           4
        .value_kind:     by_value
      - .offset:         16
        .size:           8
        .value_kind:     by_value
      - .offset:         24
        .size:           8
        .value_kind:     by_value
      - .offset:         32
        .size:           8
        .value_kind:     by_value
      - .actual_access:  read_only
        .address_space:  global
        .offset:         40
        .size:           8
        .value_kind:     global_buffer
      - .actual_access:  read_only
        .address_space:  global
        .offset:         48
        .size:           8
        .value_kind:     global_buffer
      - .actual_access:  read_only
        .address_space:  global
        .offset:         56
        .size:           8
        .value_kind:     global_buffer
      - .offset:         64
        .size:           4
        .value_kind:     by_value
      - .actual_access:  read_only
        .address_space:  global
        .offset:         72
        .size:           8
        .value_kind:     global_buffer
      - .offset:         80
        .size:           8
        .value_kind:     by_value
      - .offset:         88
        .size:           8
        .value_kind:     by_value
      - .offset:         96
        .size:           8
        .value_kind:     by_value
      - .address_space:  global
        .offset:         104
        .size:           8
        .value_kind:     global_buffer
      - .offset:         112
        .size:           8
        .value_kind:     by_value
      - .offset:         120
        .size:           8
        .value_kind:     by_value
      - .offset:         128
        .size:           4
        .value_kind:     by_value
      - .offset:         132
        .size:           4
        .value_kind:     by_value
      - .offset:         136
        .size:           1
        .value_kind:     by_value
    .group_segment_fixed_size: 1152
    .kernarg_segment_align: 8
    .kernarg_segment_size: 140
    .language:       OpenCL C
    .language_version:
      - 2
      - 0
    .max_flat_workgroup_size: 64
    .name:           _ZN9rocsparseL31bsrmm_large_blockdim_kernel_extILj4ELj16ELj2EliddddEEvb20rocsparse_direction_T3_S2_llNS_24const_host_device_scalarIT7_EEPKT2_PKS2_PKT4_S2_PKT5_llS5_PT6_ll16rocsparse_order_21rocsparse_index_base_b
    .private_segment_fixed_size: 0
    .sgpr_count:     44
    .sgpr_spill_count: 0
    .symbol:         _ZN9rocsparseL31bsrmm_large_blockdim_kernel_extILj4ELj16ELj2EliddddEEvb20rocsparse_direction_T3_S2_llNS_24const_host_device_scalarIT7_EEPKT2_PKS2_PKT4_S2_PKT5_llS5_PT6_ll16rocsparse_order_21rocsparse_index_base_b.kd
    .uniform_work_group_size: 1
    .uses_dynamic_stack: false
    .vgpr_count:     32
    .vgpr_spill_count: 0
    .wavefront_size: 64
  - .agpr_count:     0
    .args:
      - .offset:         0
        .size:           1
        .value_kind:     by_value
      - .offset:         4
        .size:           4
        .value_kind:     by_value
      - .offset:         8
        .size:           4
        .value_kind:     by_value
      - .offset:         12
        .size:           4
        .value_kind:     by_value
      - .offset:         16
        .size:           8
        .value_kind:     by_value
      - .offset:         24
        .size:           8
        .value_kind:     by_value
      - .offset:         32
        .size:           8
        .value_kind:     by_value
      - .actual_access:  read_only
        .address_space:  global
        .offset:         40
        .size:           8
        .value_kind:     global_buffer
      - .actual_access:  read_only
        .address_space:  global
        .offset:         48
        .size:           8
        .value_kind:     global_buffer
      - .actual_access:  read_only
        .address_space:  global
        .offset:         56
        .size:           8
        .value_kind:     global_buffer
      - .offset:         64
        .size:           4
        .value_kind:     by_value
      - .actual_access:  read_only
        .address_space:  global
        .offset:         72
        .size:           8
        .value_kind:     global_buffer
      - .offset:         80
        .size:           8
        .value_kind:     by_value
      - .offset:         88
        .size:           8
        .value_kind:     by_value
      - .offset:         96
        .size:           8
        .value_kind:     by_value
      - .address_space:  global
        .offset:         104
        .size:           8
        .value_kind:     global_buffer
      - .offset:         112
        .size:           8
        .value_kind:     by_value
      - .offset:         120
        .size:           8
        .value_kind:     by_value
      - .offset:         128
        .size:           4
        .value_kind:     by_value
      - .offset:         132
        .size:           4
        .value_kind:     by_value
      - .offset:         136
        .size:           1
        .value_kind:     by_value
    .group_segment_fixed_size: 6144
    .kernarg_segment_align: 8
    .kernarg_segment_size: 140
    .language:       OpenCL C
    .language_version:
      - 2
      - 0
    .max_flat_workgroup_size: 256
    .name:           _ZN9rocsparseL31bsrmm_large_blockdim_kernel_extILj16ELj16ELj2EliddddEEvb20rocsparse_direction_T3_S2_llNS_24const_host_device_scalarIT7_EEPKT2_PKS2_PKT4_S2_PKT5_llS5_PT6_ll16rocsparse_order_21rocsparse_index_base_b
    .private_segment_fixed_size: 0
    .sgpr_count:     44
    .sgpr_spill_count: 0
    .symbol:         _ZN9rocsparseL31bsrmm_large_blockdim_kernel_extILj16ELj16ELj2EliddddEEvb20rocsparse_direction_T3_S2_llNS_24const_host_device_scalarIT7_EEPKT2_PKS2_PKT4_S2_PKT5_llS5_PT6_ll16rocsparse_order_21rocsparse_index_base_b.kd
    .uniform_work_group_size: 1
    .uses_dynamic_stack: false
    .vgpr_count:     32
    .vgpr_spill_count: 0
    .wavefront_size: 64
  - .agpr_count:     0
    .args:
      - .offset:         0
        .size:           1
        .value_kind:     by_value
      - .offset:         4
        .size:           4
        .value_kind:     by_value
      - .offset:         8
        .size:           4
        .value_kind:     by_value
      - .offset:         12
        .size:           4
        .value_kind:     by_value
      - .offset:         16
        .size:           8
        .value_kind:     by_value
      - .offset:         24
        .size:           8
        .value_kind:     by_value
      - .offset:         32
        .size:           8
        .value_kind:     by_value
      - .actual_access:  read_only
        .address_space:  global
        .offset:         40
        .size:           8
        .value_kind:     global_buffer
      - .actual_access:  read_only
        .address_space:  global
        .offset:         48
        .size:           8
        .value_kind:     global_buffer
      - .actual_access:  read_only
        .address_space:  global
        .offset:         56
        .size:           8
        .value_kind:     global_buffer
      - .offset:         64
        .size:           4
        .value_kind:     by_value
      - .actual_access:  read_only
        .address_space:  global
        .offset:         72
        .size:           8
        .value_kind:     global_buffer
      - .offset:         80
        .size:           8
        .value_kind:     by_value
      - .offset:         88
        .size:           8
        .value_kind:     by_value
      - .offset:         96
        .size:           8
        .value_kind:     by_value
      - .address_space:  global
        .offset:         104
        .size:           8
        .value_kind:     global_buffer
      - .offset:         112
        .size:           8
        .value_kind:     by_value
      - .offset:         120
        .size:           8
        .value_kind:     by_value
      - .offset:         128
        .size:           4
        .value_kind:     by_value
      - .offset:         132
        .size:           4
        .value_kind:     by_value
      - .offset:         136
        .size:           1
        .value_kind:     by_value
    .group_segment_fixed_size: 24576
    .kernarg_segment_align: 8
    .kernarg_segment_size: 140
    .language:       OpenCL C
    .language_version:
      - 2
      - 0
    .max_flat_workgroup_size: 1024
    .name:           _ZN9rocsparseL31bsrmm_large_blockdim_kernel_extILj32ELj32ELj2EliddddEEvb20rocsparse_direction_T3_S2_llNS_24const_host_device_scalarIT7_EEPKT2_PKS2_PKT4_S2_PKT5_llS5_PT6_ll16rocsparse_order_21rocsparse_index_base_b
    .private_segment_fixed_size: 0
    .sgpr_count:     44
    .sgpr_spill_count: 0
    .symbol:         _ZN9rocsparseL31bsrmm_large_blockdim_kernel_extILj32ELj32ELj2EliddddEEvb20rocsparse_direction_T3_S2_llNS_24const_host_device_scalarIT7_EEPKT2_PKS2_PKT4_S2_PKT5_llS5_PT6_ll16rocsparse_order_21rocsparse_index_base_b.kd
    .uniform_work_group_size: 1
    .uses_dynamic_stack: false
    .vgpr_count:     34
    .vgpr_spill_count: 0
    .wavefront_size: 64
  - .agpr_count:     0
    .args:
      - .offset:         0
        .size:           1
        .value_kind:     by_value
      - .offset:         4
        .size:           4
        .value_kind:     by_value
      - .offset:         8
        .size:           8
        .value_kind:     by_value
      - .offset:         16
        .size:           8
        .value_kind:     by_value
      - .offset:         24
        .size:           8
        .value_kind:     by_value
      - .offset:         32
        .size:           8
        .value_kind:     by_value
      - .offset:         40
        .size:           8
        .value_kind:     by_value
      - .actual_access:  read_only
        .address_space:  global
        .offset:         48
        .size:           8
        .value_kind:     global_buffer
      - .actual_access:  read_only
        .address_space:  global
        .offset:         56
        .size:           8
        .value_kind:     global_buffer
      - .actual_access:  read_only
        .address_space:  global
        .offset:         64
        .size:           8
        .value_kind:     global_buffer
      - .offset:         72
        .size:           8
        .value_kind:     by_value
      - .actual_access:  read_only
        .address_space:  global
        .offset:         80
        .size:           8
        .value_kind:     global_buffer
      - .offset:         88
        .size:           8
        .value_kind:     by_value
      - .offset:         96
        .size:           8
        .value_kind:     by_value
      - .offset:         104
        .size:           8
        .value_kind:     by_value
      - .address_space:  global
        .offset:         112
        .size:           8
        .value_kind:     global_buffer
      - .offset:         120
        .size:           8
        .value_kind:     by_value
      - .offset:         128
        .size:           8
        .value_kind:     by_value
      - .offset:         136
        .size:           4
        .value_kind:     by_value
      - .offset:         140
        .size:           4
        .value_kind:     by_value
      - .offset:         144
        .size:           1
        .value_kind:     by_value
    .group_segment_fixed_size: 1536
    .kernarg_segment_align: 8
    .kernarg_segment_size: 148
    .language:       OpenCL C
    .language_version:
      - 2
      - 0
    .max_flat_workgroup_size: 64
    .name:           _ZN9rocsparseL31bsrmm_large_blockdim_kernel_extILj8ELj8ELj2EllddddEEvb20rocsparse_direction_T3_S2_llNS_24const_host_device_scalarIT7_EEPKT2_PKS2_PKT4_S2_PKT5_llS5_PT6_ll16rocsparse_order_21rocsparse_index_base_b
    .private_segment_fixed_size: 0
    .sgpr_count:     53
    .sgpr_spill_count: 0
    .symbol:         _ZN9rocsparseL31bsrmm_large_blockdim_kernel_extILj8ELj8ELj2EllddddEEvb20rocsparse_direction_T3_S2_llNS_24const_host_device_scalarIT7_EEPKT2_PKS2_PKT4_S2_PKT5_llS5_PT6_ll16rocsparse_order_21rocsparse_index_base_b.kd
    .uniform_work_group_size: 1
    .uses_dynamic_stack: false
    .vgpr_count:     36
    .vgpr_spill_count: 0
    .wavefront_size: 64
  - .agpr_count:     0
    .args:
      - .offset:         0
        .size:           1
        .value_kind:     by_value
      - .offset:         4
        .size:           4
        .value_kind:     by_value
      - .offset:         8
        .size:           8
        .value_kind:     by_value
      - .offset:         16
        .size:           8
        .value_kind:     by_value
      - .offset:         24
        .size:           8
        .value_kind:     by_value
      - .offset:         32
        .size:           8
        .value_kind:     by_value
      - .offset:         40
        .size:           8
        .value_kind:     by_value
      - .actual_access:  read_only
        .address_space:  global
        .offset:         48
        .size:           8
        .value_kind:     global_buffer
      - .actual_access:  read_only
        .address_space:  global
        .offset:         56
        .size:           8
        .value_kind:     global_buffer
      - .actual_access:  read_only
        .address_space:  global
        .offset:         64
        .size:           8
        .value_kind:     global_buffer
      - .offset:         72
        .size:           8
        .value_kind:     by_value
      - .actual_access:  read_only
        .address_space:  global
        .offset:         80
        .size:           8
        .value_kind:     global_buffer
      - .offset:         88
        .size:           8
        .value_kind:     by_value
      - .offset:         96
        .size:           8
        .value_kind:     by_value
      - .offset:         104
        .size:           8
        .value_kind:     by_value
      - .address_space:  global
        .offset:         112
        .size:           8
        .value_kind:     global_buffer
      - .offset:         120
        .size:           8
        .value_kind:     by_value
      - .offset:         128
        .size:           8
        .value_kind:     by_value
      - .offset:         136
        .size:           4
        .value_kind:     by_value
      - .offset:         140
        .size:           4
        .value_kind:     by_value
      - .offset:         144
        .size:           1
        .value_kind:     by_value
    .group_segment_fixed_size: 1152
    .kernarg_segment_align: 8
    .kernarg_segment_size: 148
    .language:       OpenCL C
    .language_version:
      - 2
      - 0
    .max_flat_workgroup_size: 64
    .name:           _ZN9rocsparseL31bsrmm_large_blockdim_kernel_extILj4ELj16ELj2EllddddEEvb20rocsparse_direction_T3_S2_llNS_24const_host_device_scalarIT7_EEPKT2_PKS2_PKT4_S2_PKT5_llS5_PT6_ll16rocsparse_order_21rocsparse_index_base_b
    .private_segment_fixed_size: 0
    .sgpr_count:     53
    .sgpr_spill_count: 0
    .symbol:         _ZN9rocsparseL31bsrmm_large_blockdim_kernel_extILj4ELj16ELj2EllddddEEvb20rocsparse_direction_T3_S2_llNS_24const_host_device_scalarIT7_EEPKT2_PKS2_PKT4_S2_PKT5_llS5_PT6_ll16rocsparse_order_21rocsparse_index_base_b.kd
    .uniform_work_group_size: 1
    .uses_dynamic_stack: false
    .vgpr_count:     36
    .vgpr_spill_count: 0
    .wavefront_size: 64
  - .agpr_count:     0
    .args:
      - .offset:         0
        .size:           1
        .value_kind:     by_value
      - .offset:         4
        .size:           4
        .value_kind:     by_value
      - .offset:         8
        .size:           8
        .value_kind:     by_value
      - .offset:         16
        .size:           8
        .value_kind:     by_value
      - .offset:         24
        .size:           8
        .value_kind:     by_value
      - .offset:         32
        .size:           8
        .value_kind:     by_value
      - .offset:         40
        .size:           8
        .value_kind:     by_value
      - .actual_access:  read_only
        .address_space:  global
        .offset:         48
        .size:           8
        .value_kind:     global_buffer
      - .actual_access:  read_only
        .address_space:  global
        .offset:         56
        .size:           8
        .value_kind:     global_buffer
      - .actual_access:  read_only
        .address_space:  global
        .offset:         64
        .size:           8
        .value_kind:     global_buffer
      - .offset:         72
        .size:           8
        .value_kind:     by_value
      - .actual_access:  read_only
        .address_space:  global
        .offset:         80
        .size:           8
        .value_kind:     global_buffer
      - .offset:         88
        .size:           8
        .value_kind:     by_value
      - .offset:         96
        .size:           8
        .value_kind:     by_value
      - .offset:         104
        .size:           8
        .value_kind:     by_value
      - .address_space:  global
        .offset:         112
        .size:           8
        .value_kind:     global_buffer
      - .offset:         120
        .size:           8
        .value_kind:     by_value
      - .offset:         128
        .size:           8
        .value_kind:     by_value
      - .offset:         136
        .size:           4
        .value_kind:     by_value
      - .offset:         140
        .size:           4
        .value_kind:     by_value
      - .offset:         144
        .size:           1
        .value_kind:     by_value
    .group_segment_fixed_size: 6144
    .kernarg_segment_align: 8
    .kernarg_segment_size: 148
    .language:       OpenCL C
    .language_version:
      - 2
      - 0
    .max_flat_workgroup_size: 256
    .name:           _ZN9rocsparseL31bsrmm_large_blockdim_kernel_extILj16ELj16ELj2EllddddEEvb20rocsparse_direction_T3_S2_llNS_24const_host_device_scalarIT7_EEPKT2_PKS2_PKT4_S2_PKT5_llS5_PT6_ll16rocsparse_order_21rocsparse_index_base_b
    .private_segment_fixed_size: 0
    .sgpr_count:     53
    .sgpr_spill_count: 0
    .symbol:         _ZN9rocsparseL31bsrmm_large_blockdim_kernel_extILj16ELj16ELj2EllddddEEvb20rocsparse_direction_T3_S2_llNS_24const_host_device_scalarIT7_EEPKT2_PKS2_PKT4_S2_PKT5_llS5_PT6_ll16rocsparse_order_21rocsparse_index_base_b.kd
    .uniform_work_group_size: 1
    .uses_dynamic_stack: false
    .vgpr_count:     36
    .vgpr_spill_count: 0
    .wavefront_size: 64
  - .agpr_count:     0
    .args:
      - .offset:         0
        .size:           1
        .value_kind:     by_value
      - .offset:         4
        .size:           4
        .value_kind:     by_value
      - .offset:         8
        .size:           8
        .value_kind:     by_value
      - .offset:         16
        .size:           8
        .value_kind:     by_value
      - .offset:         24
        .size:           8
        .value_kind:     by_value
      - .offset:         32
        .size:           8
        .value_kind:     by_value
      - .offset:         40
        .size:           8
        .value_kind:     by_value
      - .actual_access:  read_only
        .address_space:  global
        .offset:         48
        .size:           8
        .value_kind:     global_buffer
      - .actual_access:  read_only
        .address_space:  global
        .offset:         56
        .size:           8
        .value_kind:     global_buffer
      - .actual_access:  read_only
        .address_space:  global
        .offset:         64
        .size:           8
        .value_kind:     global_buffer
      - .offset:         72
        .size:           8
        .value_kind:     by_value
      - .actual_access:  read_only
        .address_space:  global
        .offset:         80
        .size:           8
        .value_kind:     global_buffer
      - .offset:         88
        .size:           8
        .value_kind:     by_value
      - .offset:         96
        .size:           8
        .value_kind:     by_value
      - .offset:         104
        .size:           8
        .value_kind:     by_value
      - .address_space:  global
        .offset:         112
        .size:           8
        .value_kind:     global_buffer
      - .offset:         120
        .size:           8
        .value_kind:     by_value
      - .offset:         128
        .size:           8
        .value_kind:     by_value
      - .offset:         136
        .size:           4
        .value_kind:     by_value
      - .offset:         140
        .size:           4
        .value_kind:     by_value
      - .offset:         144
        .size:           1
        .value_kind:     by_value
    .group_segment_fixed_size: 24576
    .kernarg_segment_align: 8
    .kernarg_segment_size: 148
    .language:       OpenCL C
    .language_version:
      - 2
      - 0
    .max_flat_workgroup_size: 1024
    .name:           _ZN9rocsparseL31bsrmm_large_blockdim_kernel_extILj32ELj32ELj2EllddddEEvb20rocsparse_direction_T3_S2_llNS_24const_host_device_scalarIT7_EEPKT2_PKS2_PKT4_S2_PKT5_llS5_PT6_ll16rocsparse_order_21rocsparse_index_base_b
    .private_segment_fixed_size: 0
    .sgpr_count:     51
    .sgpr_spill_count: 0
    .symbol:         _ZN9rocsparseL31bsrmm_large_blockdim_kernel_extILj32ELj32ELj2EllddddEEvb20rocsparse_direction_T3_S2_llNS_24const_host_device_scalarIT7_EEPKT2_PKS2_PKT4_S2_PKT5_llS5_PT6_ll16rocsparse_order_21rocsparse_index_base_b.kd
    .uniform_work_group_size: 1
    .uses_dynamic_stack: false
    .vgpr_count:     38
    .vgpr_spill_count: 0
    .wavefront_size: 64
  - .agpr_count:     0
    .args:
      - .offset:         0
        .size:           1
        .value_kind:     by_value
      - .offset:         4
        .size:           4
        .value_kind:     by_value
      - .offset:         8
        .size:           4
        .value_kind:     by_value
      - .offset:         12
        .size:           4
        .value_kind:     by_value
      - .offset:         16
        .size:           8
        .value_kind:     by_value
      - .offset:         24
        .size:           8
        .value_kind:     by_value
      - .offset:         32
        .size:           8
        .value_kind:     by_value
      - .actual_access:  read_only
        .address_space:  global
        .offset:         40
        .size:           8
        .value_kind:     global_buffer
      - .actual_access:  read_only
        .address_space:  global
        .offset:         48
        .size:           8
        .value_kind:     global_buffer
      - .actual_access:  read_only
        .address_space:  global
        .offset:         56
        .size:           8
        .value_kind:     global_buffer
      - .offset:         64
        .size:           4
        .value_kind:     by_value
      - .actual_access:  read_only
        .address_space:  global
        .offset:         72
        .size:           8
        .value_kind:     global_buffer
      - .offset:         80
        .size:           8
        .value_kind:     by_value
      - .offset:         88
        .size:           8
        .value_kind:     by_value
      - .offset:         96
        .size:           8
        .value_kind:     by_value
      - .address_space:  global
        .offset:         104
        .size:           8
        .value_kind:     global_buffer
      - .offset:         112
        .size:           8
        .value_kind:     by_value
      - .offset:         120
        .size:           8
        .value_kind:     by_value
      - .offset:         128
        .size:           4
        .value_kind:     by_value
      - .offset:         132
        .size:           4
        .value_kind:     by_value
      - .offset:         136
        .size:           1
        .value_kind:     by_value
    .group_segment_fixed_size: 1536
    .kernarg_segment_align: 8
    .kernarg_segment_size: 140
    .language:       OpenCL C
    .language_version:
      - 2
      - 0
    .max_flat_workgroup_size: 64
    .name:           _ZN9rocsparseL31bsrmm_large_blockdim_kernel_extILj8ELj8ELj2Eii21rocsparse_complex_numIfES2_S2_S2_EEvb20rocsparse_direction_T3_S4_llNS_24const_host_device_scalarIT7_EEPKT2_PKS4_PKT4_S4_PKT5_llS7_PT6_ll16rocsparse_order_21rocsparse_index_base_b
    .private_segment_fixed_size: 0
    .sgpr_count:     44
    .sgpr_spill_count: 0
    .symbol:         _ZN9rocsparseL31bsrmm_large_blockdim_kernel_extILj8ELj8ELj2Eii21rocsparse_complex_numIfES2_S2_S2_EEvb20rocsparse_direction_T3_S4_llNS_24const_host_device_scalarIT7_EEPKT2_PKS4_PKT4_S4_PKT5_llS7_PT6_ll16rocsparse_order_21rocsparse_index_base_b.kd
    .uniform_work_group_size: 1
    .uses_dynamic_stack: false
    .vgpr_count:     32
    .vgpr_spill_count: 0
    .wavefront_size: 64
  - .agpr_count:     0
    .args:
      - .offset:         0
        .size:           1
        .value_kind:     by_value
      - .offset:         4
        .size:           4
        .value_kind:     by_value
      - .offset:         8
        .size:           4
        .value_kind:     by_value
      - .offset:         12
        .size:           4
        .value_kind:     by_value
      - .offset:         16
        .size:           8
        .value_kind:     by_value
      - .offset:         24
        .size:           8
        .value_kind:     by_value
      - .offset:         32
        .size:           8
        .value_kind:     by_value
      - .actual_access:  read_only
        .address_space:  global
        .offset:         40
        .size:           8
        .value_kind:     global_buffer
      - .actual_access:  read_only
        .address_space:  global
        .offset:         48
        .size:           8
        .value_kind:     global_buffer
      - .actual_access:  read_only
        .address_space:  global
        .offset:         56
        .size:           8
        .value_kind:     global_buffer
      - .offset:         64
        .size:           4
        .value_kind:     by_value
      - .actual_access:  read_only
        .address_space:  global
        .offset:         72
        .size:           8
        .value_kind:     global_buffer
      - .offset:         80
        .size:           8
        .value_kind:     by_value
      - .offset:         88
        .size:           8
        .value_kind:     by_value
      - .offset:         96
        .size:           8
        .value_kind:     by_value
      - .address_space:  global
        .offset:         104
        .size:           8
        .value_kind:     global_buffer
      - .offset:         112
        .size:           8
        .value_kind:     by_value
      - .offset:         120
        .size:           8
        .value_kind:     by_value
      - .offset:         128
        .size:           4
        .value_kind:     by_value
      - .offset:         132
        .size:           4
        .value_kind:     by_value
      - .offset:         136
        .size:           1
        .value_kind:     by_value
    .group_segment_fixed_size: 1152
    .kernarg_segment_align: 8
    .kernarg_segment_size: 140
    .language:       OpenCL C
    .language_version:
      - 2
      - 0
    .max_flat_workgroup_size: 64
    .name:           _ZN9rocsparseL31bsrmm_large_blockdim_kernel_extILj4ELj16ELj2Eii21rocsparse_complex_numIfES2_S2_S2_EEvb20rocsparse_direction_T3_S4_llNS_24const_host_device_scalarIT7_EEPKT2_PKS4_PKT4_S4_PKT5_llS7_PT6_ll16rocsparse_order_21rocsparse_index_base_b
    .private_segment_fixed_size: 0
    .sgpr_count:     44
    .sgpr_spill_count: 0
    .symbol:         _ZN9rocsparseL31bsrmm_large_blockdim_kernel_extILj4ELj16ELj2Eii21rocsparse_complex_numIfES2_S2_S2_EEvb20rocsparse_direction_T3_S4_llNS_24const_host_device_scalarIT7_EEPKT2_PKS4_PKT4_S4_PKT5_llS7_PT6_ll16rocsparse_order_21rocsparse_index_base_b.kd
    .uniform_work_group_size: 1
    .uses_dynamic_stack: false
    .vgpr_count:     32
    .vgpr_spill_count: 0
    .wavefront_size: 64
  - .agpr_count:     0
    .args:
      - .offset:         0
        .size:           1
        .value_kind:     by_value
      - .offset:         4
        .size:           4
        .value_kind:     by_value
      - .offset:         8
        .size:           4
        .value_kind:     by_value
      - .offset:         12
        .size:           4
        .value_kind:     by_value
      - .offset:         16
        .size:           8
        .value_kind:     by_value
      - .offset:         24
        .size:           8
        .value_kind:     by_value
      - .offset:         32
        .size:           8
        .value_kind:     by_value
      - .actual_access:  read_only
        .address_space:  global
        .offset:         40
        .size:           8
        .value_kind:     global_buffer
      - .actual_access:  read_only
        .address_space:  global
        .offset:         48
        .size:           8
        .value_kind:     global_buffer
      - .actual_access:  read_only
        .address_space:  global
        .offset:         56
        .size:           8
        .value_kind:     global_buffer
      - .offset:         64
        .size:           4
        .value_kind:     by_value
      - .actual_access:  read_only
        .address_space:  global
        .offset:         72
        .size:           8
        .value_kind:     global_buffer
      - .offset:         80
        .size:           8
        .value_kind:     by_value
      - .offset:         88
        .size:           8
        .value_kind:     by_value
      - .offset:         96
        .size:           8
        .value_kind:     by_value
      - .address_space:  global
        .offset:         104
        .size:           8
        .value_kind:     global_buffer
      - .offset:         112
        .size:           8
        .value_kind:     by_value
      - .offset:         120
        .size:           8
        .value_kind:     by_value
      - .offset:         128
        .size:           4
        .value_kind:     by_value
      - .offset:         132
        .size:           4
        .value_kind:     by_value
      - .offset:         136
        .size:           1
        .value_kind:     by_value
    .group_segment_fixed_size: 6144
    .kernarg_segment_align: 8
    .kernarg_segment_size: 140
    .language:       OpenCL C
    .language_version:
      - 2
      - 0
    .max_flat_workgroup_size: 256
    .name:           _ZN9rocsparseL31bsrmm_large_blockdim_kernel_extILj16ELj16ELj2Eii21rocsparse_complex_numIfES2_S2_S2_EEvb20rocsparse_direction_T3_S4_llNS_24const_host_device_scalarIT7_EEPKT2_PKS4_PKT4_S4_PKT5_llS7_PT6_ll16rocsparse_order_21rocsparse_index_base_b
    .private_segment_fixed_size: 0
    .sgpr_count:     44
    .sgpr_spill_count: 0
    .symbol:         _ZN9rocsparseL31bsrmm_large_blockdim_kernel_extILj16ELj16ELj2Eii21rocsparse_complex_numIfES2_S2_S2_EEvb20rocsparse_direction_T3_S4_llNS_24const_host_device_scalarIT7_EEPKT2_PKS4_PKT4_S4_PKT5_llS7_PT6_ll16rocsparse_order_21rocsparse_index_base_b.kd
    .uniform_work_group_size: 1
    .uses_dynamic_stack: false
    .vgpr_count:     32
    .vgpr_spill_count: 0
    .wavefront_size: 64
  - .agpr_count:     0
    .args:
      - .offset:         0
        .size:           1
        .value_kind:     by_value
      - .offset:         4
        .size:           4
        .value_kind:     by_value
      - .offset:         8
        .size:           4
        .value_kind:     by_value
      - .offset:         12
        .size:           4
        .value_kind:     by_value
      - .offset:         16
        .size:           8
        .value_kind:     by_value
      - .offset:         24
        .size:           8
        .value_kind:     by_value
      - .offset:         32
        .size:           8
        .value_kind:     by_value
      - .actual_access:  read_only
        .address_space:  global
        .offset:         40
        .size:           8
        .value_kind:     global_buffer
      - .actual_access:  read_only
        .address_space:  global
        .offset:         48
        .size:           8
        .value_kind:     global_buffer
      - .actual_access:  read_only
        .address_space:  global
        .offset:         56
        .size:           8
        .value_kind:     global_buffer
      - .offset:         64
        .size:           4
        .value_kind:     by_value
      - .actual_access:  read_only
        .address_space:  global
        .offset:         72
        .size:           8
        .value_kind:     global_buffer
      - .offset:         80
        .size:           8
        .value_kind:     by_value
      - .offset:         88
        .size:           8
        .value_kind:     by_value
      - .offset:         96
        .size:           8
        .value_kind:     by_value
      - .address_space:  global
        .offset:         104
        .size:           8
        .value_kind:     global_buffer
      - .offset:         112
        .size:           8
        .value_kind:     by_value
      - .offset:         120
        .size:           8
        .value_kind:     by_value
      - .offset:         128
        .size:           4
        .value_kind:     by_value
      - .offset:         132
        .size:           4
        .value_kind:     by_value
      - .offset:         136
        .size:           1
        .value_kind:     by_value
    .group_segment_fixed_size: 24576
    .kernarg_segment_align: 8
    .kernarg_segment_size: 140
    .language:       OpenCL C
    .language_version:
      - 2
      - 0
    .max_flat_workgroup_size: 1024
    .name:           _ZN9rocsparseL31bsrmm_large_blockdim_kernel_extILj32ELj32ELj2Eii21rocsparse_complex_numIfES2_S2_S2_EEvb20rocsparse_direction_T3_S4_llNS_24const_host_device_scalarIT7_EEPKT2_PKS4_PKT4_S4_PKT5_llS7_PT6_ll16rocsparse_order_21rocsparse_index_base_b
    .private_segment_fixed_size: 0
    .sgpr_count:     44
    .sgpr_spill_count: 0
    .symbol:         _ZN9rocsparseL31bsrmm_large_blockdim_kernel_extILj32ELj32ELj2Eii21rocsparse_complex_numIfES2_S2_S2_EEvb20rocsparse_direction_T3_S4_llNS_24const_host_device_scalarIT7_EEPKT2_PKS4_PKT4_S4_PKT5_llS7_PT6_ll16rocsparse_order_21rocsparse_index_base_b.kd
    .uniform_work_group_size: 1
    .uses_dynamic_stack: false
    .vgpr_count:     32
    .vgpr_spill_count: 0
    .wavefront_size: 64
  - .agpr_count:     0
    .args:
      - .offset:         0
        .size:           1
        .value_kind:     by_value
      - .offset:         4
        .size:           4
        .value_kind:     by_value
      - .offset:         8
        .size:           4
        .value_kind:     by_value
      - .offset:         12
        .size:           4
        .value_kind:     by_value
      - .offset:         16
        .size:           8
        .value_kind:     by_value
      - .offset:         24
        .size:           8
        .value_kind:     by_value
      - .offset:         32
        .size:           8
        .value_kind:     by_value
      - .actual_access:  read_only
        .address_space:  global
        .offset:         40
        .size:           8
        .value_kind:     global_buffer
      - .actual_access:  read_only
        .address_space:  global
        .offset:         48
        .size:           8
        .value_kind:     global_buffer
      - .actual_access:  read_only
        .address_space:  global
        .offset:         56
        .size:           8
        .value_kind:     global_buffer
      - .offset:         64
        .size:           4
        .value_kind:     by_value
      - .actual_access:  read_only
        .address_space:  global
        .offset:         72
        .size:           8
        .value_kind:     global_buffer
      - .offset:         80
        .size:           8
        .value_kind:     by_value
      - .offset:         88
        .size:           8
        .value_kind:     by_value
      - .offset:         96
        .size:           8
        .value_kind:     by_value
      - .address_space:  global
        .offset:         104
        .size:           8
        .value_kind:     global_buffer
      - .offset:         112
        .size:           8
        .value_kind:     by_value
      - .offset:         120
        .size:           8
        .value_kind:     by_value
      - .offset:         128
        .size:           4
        .value_kind:     by_value
      - .offset:         132
        .size:           4
        .value_kind:     by_value
      - .offset:         136
        .size:           1
        .value_kind:     by_value
    .group_segment_fixed_size: 1536
    .kernarg_segment_align: 8
    .kernarg_segment_size: 140
    .language:       OpenCL C
    .language_version:
      - 2
      - 0
    .max_flat_workgroup_size: 64
    .name:           _ZN9rocsparseL31bsrmm_large_blockdim_kernel_extILj8ELj8ELj2Eli21rocsparse_complex_numIfES2_S2_S2_EEvb20rocsparse_direction_T3_S4_llNS_24const_host_device_scalarIT7_EEPKT2_PKS4_PKT4_S4_PKT5_llS7_PT6_ll16rocsparse_order_21rocsparse_index_base_b
    .private_segment_fixed_size: 0
    .sgpr_count:     46
    .sgpr_spill_count: 0
    .symbol:         _ZN9rocsparseL31bsrmm_large_blockdim_kernel_extILj8ELj8ELj2Eli21rocsparse_complex_numIfES2_S2_S2_EEvb20rocsparse_direction_T3_S4_llNS_24const_host_device_scalarIT7_EEPKT2_PKS4_PKT4_S4_PKT5_llS7_PT6_ll16rocsparse_order_21rocsparse_index_base_b.kd
    .uniform_work_group_size: 1
    .uses_dynamic_stack: false
    .vgpr_count:     32
    .vgpr_spill_count: 0
    .wavefront_size: 64
  - .agpr_count:     0
    .args:
      - .offset:         0
        .size:           1
        .value_kind:     by_value
      - .offset:         4
        .size:           4
        .value_kind:     by_value
      - .offset:         8
        .size:           4
        .value_kind:     by_value
      - .offset:         12
        .size:           4
        .value_kind:     by_value
      - .offset:         16
        .size:           8
        .value_kind:     by_value
      - .offset:         24
        .size:           8
        .value_kind:     by_value
      - .offset:         32
        .size:           8
        .value_kind:     by_value
      - .actual_access:  read_only
        .address_space:  global
        .offset:         40
        .size:           8
        .value_kind:     global_buffer
      - .actual_access:  read_only
        .address_space:  global
        .offset:         48
        .size:           8
        .value_kind:     global_buffer
      - .actual_access:  read_only
        .address_space:  global
        .offset:         56
        .size:           8
        .value_kind:     global_buffer
      - .offset:         64
        .size:           4
        .value_kind:     by_value
      - .actual_access:  read_only
        .address_space:  global
        .offset:         72
        .size:           8
        .value_kind:     global_buffer
      - .offset:         80
        .size:           8
        .value_kind:     by_value
      - .offset:         88
        .size:           8
        .value_kind:     by_value
      - .offset:         96
        .size:           8
        .value_kind:     by_value
      - .address_space:  global
        .offset:         104
        .size:           8
        .value_kind:     global_buffer
      - .offset:         112
        .size:           8
        .value_kind:     by_value
      - .offset:         120
        .size:           8
        .value_kind:     by_value
      - .offset:         128
        .size:           4
        .value_kind:     by_value
      - .offset:         132
        .size:           4
        .value_kind:     by_value
      - .offset:         136
        .size:           1
        .value_kind:     by_value
    .group_segment_fixed_size: 1152
    .kernarg_segment_align: 8
    .kernarg_segment_size: 140
    .language:       OpenCL C
    .language_version:
      - 2
      - 0
    .max_flat_workgroup_size: 64
    .name:           _ZN9rocsparseL31bsrmm_large_blockdim_kernel_extILj4ELj16ELj2Eli21rocsparse_complex_numIfES2_S2_S2_EEvb20rocsparse_direction_T3_S4_llNS_24const_host_device_scalarIT7_EEPKT2_PKS4_PKT4_S4_PKT5_llS7_PT6_ll16rocsparse_order_21rocsparse_index_base_b
    .private_segment_fixed_size: 0
    .sgpr_count:     46
    .sgpr_spill_count: 0
    .symbol:         _ZN9rocsparseL31bsrmm_large_blockdim_kernel_extILj4ELj16ELj2Eli21rocsparse_complex_numIfES2_S2_S2_EEvb20rocsparse_direction_T3_S4_llNS_24const_host_device_scalarIT7_EEPKT2_PKS4_PKT4_S4_PKT5_llS7_PT6_ll16rocsparse_order_21rocsparse_index_base_b.kd
    .uniform_work_group_size: 1
    .uses_dynamic_stack: false
    .vgpr_count:     32
    .vgpr_spill_count: 0
    .wavefront_size: 64
  - .agpr_count:     0
    .args:
      - .offset:         0
        .size:           1
        .value_kind:     by_value
      - .offset:         4
        .size:           4
        .value_kind:     by_value
      - .offset:         8
        .size:           4
        .value_kind:     by_value
      - .offset:         12
        .size:           4
        .value_kind:     by_value
      - .offset:         16
        .size:           8
        .value_kind:     by_value
      - .offset:         24
        .size:           8
        .value_kind:     by_value
      - .offset:         32
        .size:           8
        .value_kind:     by_value
      - .actual_access:  read_only
        .address_space:  global
        .offset:         40
        .size:           8
        .value_kind:     global_buffer
      - .actual_access:  read_only
        .address_space:  global
        .offset:         48
        .size:           8
        .value_kind:     global_buffer
      - .actual_access:  read_only
        .address_space:  global
        .offset:         56
        .size:           8
        .value_kind:     global_buffer
      - .offset:         64
        .size:           4
        .value_kind:     by_value
      - .actual_access:  read_only
        .address_space:  global
        .offset:         72
        .size:           8
        .value_kind:     global_buffer
      - .offset:         80
        .size:           8
        .value_kind:     by_value
      - .offset:         88
        .size:           8
        .value_kind:     by_value
      - .offset:         96
        .size:           8
        .value_kind:     by_value
      - .address_space:  global
        .offset:         104
        .size:           8
        .value_kind:     global_buffer
      - .offset:         112
        .size:           8
        .value_kind:     by_value
      - .offset:         120
        .size:           8
        .value_kind:     by_value
      - .offset:         128
        .size:           4
        .value_kind:     by_value
      - .offset:         132
        .size:           4
        .value_kind:     by_value
      - .offset:         136
        .size:           1
        .value_kind:     by_value
    .group_segment_fixed_size: 6144
    .kernarg_segment_align: 8
    .kernarg_segment_size: 140
    .language:       OpenCL C
    .language_version:
      - 2
      - 0
    .max_flat_workgroup_size: 256
    .name:           _ZN9rocsparseL31bsrmm_large_blockdim_kernel_extILj16ELj16ELj2Eli21rocsparse_complex_numIfES2_S2_S2_EEvb20rocsparse_direction_T3_S4_llNS_24const_host_device_scalarIT7_EEPKT2_PKS4_PKT4_S4_PKT5_llS7_PT6_ll16rocsparse_order_21rocsparse_index_base_b
    .private_segment_fixed_size: 0
    .sgpr_count:     46
    .sgpr_spill_count: 0
    .symbol:         _ZN9rocsparseL31bsrmm_large_blockdim_kernel_extILj16ELj16ELj2Eli21rocsparse_complex_numIfES2_S2_S2_EEvb20rocsparse_direction_T3_S4_llNS_24const_host_device_scalarIT7_EEPKT2_PKS4_PKT4_S4_PKT5_llS7_PT6_ll16rocsparse_order_21rocsparse_index_base_b.kd
    .uniform_work_group_size: 1
    .uses_dynamic_stack: false
    .vgpr_count:     32
    .vgpr_spill_count: 0
    .wavefront_size: 64
  - .agpr_count:     0
    .args:
      - .offset:         0
        .size:           1
        .value_kind:     by_value
      - .offset:         4
        .size:           4
        .value_kind:     by_value
      - .offset:         8
        .size:           4
        .value_kind:     by_value
      - .offset:         12
        .size:           4
        .value_kind:     by_value
      - .offset:         16
        .size:           8
        .value_kind:     by_value
      - .offset:         24
        .size:           8
        .value_kind:     by_value
      - .offset:         32
        .size:           8
        .value_kind:     by_value
      - .actual_access:  read_only
        .address_space:  global
        .offset:         40
        .size:           8
        .value_kind:     global_buffer
      - .actual_access:  read_only
        .address_space:  global
        .offset:         48
        .size:           8
        .value_kind:     global_buffer
      - .actual_access:  read_only
        .address_space:  global
        .offset:         56
        .size:           8
        .value_kind:     global_buffer
      - .offset:         64
        .size:           4
        .value_kind:     by_value
      - .actual_access:  read_only
        .address_space:  global
        .offset:         72
        .size:           8
        .value_kind:     global_buffer
      - .offset:         80
        .size:           8
        .value_kind:     by_value
      - .offset:         88
        .size:           8
        .value_kind:     by_value
      - .offset:         96
        .size:           8
        .value_kind:     by_value
      - .address_space:  global
        .offset:         104
        .size:           8
        .value_kind:     global_buffer
      - .offset:         112
        .size:           8
        .value_kind:     by_value
      - .offset:         120
        .size:           8
        .value_kind:     by_value
      - .offset:         128
        .size:           4
        .value_kind:     by_value
      - .offset:         132
        .size:           4
        .value_kind:     by_value
      - .offset:         136
        .size:           1
        .value_kind:     by_value
    .group_segment_fixed_size: 24576
    .kernarg_segment_align: 8
    .kernarg_segment_size: 140
    .language:       OpenCL C
    .language_version:
      - 2
      - 0
    .max_flat_workgroup_size: 1024
    .name:           _ZN9rocsparseL31bsrmm_large_blockdim_kernel_extILj32ELj32ELj2Eli21rocsparse_complex_numIfES2_S2_S2_EEvb20rocsparse_direction_T3_S4_llNS_24const_host_device_scalarIT7_EEPKT2_PKS4_PKT4_S4_PKT5_llS7_PT6_ll16rocsparse_order_21rocsparse_index_base_b
    .private_segment_fixed_size: 0
    .sgpr_count:     46
    .sgpr_spill_count: 0
    .symbol:         _ZN9rocsparseL31bsrmm_large_blockdim_kernel_extILj32ELj32ELj2Eli21rocsparse_complex_numIfES2_S2_S2_EEvb20rocsparse_direction_T3_S4_llNS_24const_host_device_scalarIT7_EEPKT2_PKS4_PKT4_S4_PKT5_llS7_PT6_ll16rocsparse_order_21rocsparse_index_base_b.kd
    .uniform_work_group_size: 1
    .uses_dynamic_stack: false
    .vgpr_count:     34
    .vgpr_spill_count: 0
    .wavefront_size: 64
  - .agpr_count:     0
    .args:
      - .offset:         0
        .size:           1
        .value_kind:     by_value
      - .offset:         4
        .size:           4
        .value_kind:     by_value
      - .offset:         8
        .size:           8
        .value_kind:     by_value
      - .offset:         16
        .size:           8
        .value_kind:     by_value
      - .offset:         24
        .size:           8
        .value_kind:     by_value
      - .offset:         32
        .size:           8
        .value_kind:     by_value
      - .offset:         40
        .size:           8
        .value_kind:     by_value
      - .actual_access:  read_only
        .address_space:  global
        .offset:         48
        .size:           8
        .value_kind:     global_buffer
      - .actual_access:  read_only
        .address_space:  global
        .offset:         56
        .size:           8
        .value_kind:     global_buffer
      - .actual_access:  read_only
        .address_space:  global
        .offset:         64
        .size:           8
        .value_kind:     global_buffer
      - .offset:         72
        .size:           8
        .value_kind:     by_value
      - .actual_access:  read_only
        .address_space:  global
        .offset:         80
        .size:           8
        .value_kind:     global_buffer
      - .offset:         88
        .size:           8
        .value_kind:     by_value
      - .offset:         96
        .size:           8
        .value_kind:     by_value
      - .offset:         104
        .size:           8
        .value_kind:     by_value
      - .address_space:  global
        .offset:         112
        .size:           8
        .value_kind:     global_buffer
      - .offset:         120
        .size:           8
        .value_kind:     by_value
      - .offset:         128
        .size:           8
        .value_kind:     by_value
      - .offset:         136
        .size:           4
        .value_kind:     by_value
      - .offset:         140
        .size:           4
        .value_kind:     by_value
      - .offset:         144
        .size:           1
        .value_kind:     by_value
    .group_segment_fixed_size: 1536
    .kernarg_segment_align: 8
    .kernarg_segment_size: 148
    .language:       OpenCL C
    .language_version:
      - 2
      - 0
    .max_flat_workgroup_size: 64
    .name:           _ZN9rocsparseL31bsrmm_large_blockdim_kernel_extILj8ELj8ELj2Ell21rocsparse_complex_numIfES2_S2_S2_EEvb20rocsparse_direction_T3_S4_llNS_24const_host_device_scalarIT7_EEPKT2_PKS4_PKT4_S4_PKT5_llS7_PT6_ll16rocsparse_order_21rocsparse_index_base_b
    .private_segment_fixed_size: 0
    .sgpr_count:     55
    .sgpr_spill_count: 0
    .symbol:         _ZN9rocsparseL31bsrmm_large_blockdim_kernel_extILj8ELj8ELj2Ell21rocsparse_complex_numIfES2_S2_S2_EEvb20rocsparse_direction_T3_S4_llNS_24const_host_device_scalarIT7_EEPKT2_PKS4_PKT4_S4_PKT5_llS7_PT6_ll16rocsparse_order_21rocsparse_index_base_b.kd
    .uniform_work_group_size: 1
    .uses_dynamic_stack: false
    .vgpr_count:     36
    .vgpr_spill_count: 0
    .wavefront_size: 64
  - .agpr_count:     0
    .args:
      - .offset:         0
        .size:           1
        .value_kind:     by_value
      - .offset:         4
        .size:           4
        .value_kind:     by_value
      - .offset:         8
        .size:           8
        .value_kind:     by_value
      - .offset:         16
        .size:           8
        .value_kind:     by_value
      - .offset:         24
        .size:           8
        .value_kind:     by_value
      - .offset:         32
        .size:           8
        .value_kind:     by_value
      - .offset:         40
        .size:           8
        .value_kind:     by_value
      - .actual_access:  read_only
        .address_space:  global
        .offset:         48
        .size:           8
        .value_kind:     global_buffer
      - .actual_access:  read_only
        .address_space:  global
        .offset:         56
        .size:           8
        .value_kind:     global_buffer
      - .actual_access:  read_only
        .address_space:  global
        .offset:         64
        .size:           8
        .value_kind:     global_buffer
      - .offset:         72
        .size:           8
        .value_kind:     by_value
      - .actual_access:  read_only
        .address_space:  global
        .offset:         80
        .size:           8
        .value_kind:     global_buffer
      - .offset:         88
        .size:           8
        .value_kind:     by_value
      - .offset:         96
        .size:           8
        .value_kind:     by_value
      - .offset:         104
        .size:           8
        .value_kind:     by_value
      - .address_space:  global
        .offset:         112
        .size:           8
        .value_kind:     global_buffer
      - .offset:         120
        .size:           8
        .value_kind:     by_value
      - .offset:         128
        .size:           8
        .value_kind:     by_value
      - .offset:         136
        .size:           4
        .value_kind:     by_value
      - .offset:         140
        .size:           4
        .value_kind:     by_value
      - .offset:         144
        .size:           1
        .value_kind:     by_value
    .group_segment_fixed_size: 1152
    .kernarg_segment_align: 8
    .kernarg_segment_size: 148
    .language:       OpenCL C
    .language_version:
      - 2
      - 0
    .max_flat_workgroup_size: 64
    .name:           _ZN9rocsparseL31bsrmm_large_blockdim_kernel_extILj4ELj16ELj2Ell21rocsparse_complex_numIfES2_S2_S2_EEvb20rocsparse_direction_T3_S4_llNS_24const_host_device_scalarIT7_EEPKT2_PKS4_PKT4_S4_PKT5_llS7_PT6_ll16rocsparse_order_21rocsparse_index_base_b
    .private_segment_fixed_size: 0
    .sgpr_count:     55
    .sgpr_spill_count: 0
    .symbol:         _ZN9rocsparseL31bsrmm_large_blockdim_kernel_extILj4ELj16ELj2Ell21rocsparse_complex_numIfES2_S2_S2_EEvb20rocsparse_direction_T3_S4_llNS_24const_host_device_scalarIT7_EEPKT2_PKS4_PKT4_S4_PKT5_llS7_PT6_ll16rocsparse_order_21rocsparse_index_base_b.kd
    .uniform_work_group_size: 1
    .uses_dynamic_stack: false
    .vgpr_count:     36
    .vgpr_spill_count: 0
    .wavefront_size: 64
  - .agpr_count:     0
    .args:
      - .offset:         0
        .size:           1
        .value_kind:     by_value
      - .offset:         4
        .size:           4
        .value_kind:     by_value
      - .offset:         8
        .size:           8
        .value_kind:     by_value
      - .offset:         16
        .size:           8
        .value_kind:     by_value
      - .offset:         24
        .size:           8
        .value_kind:     by_value
      - .offset:         32
        .size:           8
        .value_kind:     by_value
      - .offset:         40
        .size:           8
        .value_kind:     by_value
      - .actual_access:  read_only
        .address_space:  global
        .offset:         48
        .size:           8
        .value_kind:     global_buffer
      - .actual_access:  read_only
        .address_space:  global
        .offset:         56
        .size:           8
        .value_kind:     global_buffer
      - .actual_access:  read_only
        .address_space:  global
        .offset:         64
        .size:           8
        .value_kind:     global_buffer
      - .offset:         72
        .size:           8
        .value_kind:     by_value
      - .actual_access:  read_only
        .address_space:  global
        .offset:         80
        .size:           8
        .value_kind:     global_buffer
      - .offset:         88
        .size:           8
        .value_kind:     by_value
      - .offset:         96
        .size:           8
        .value_kind:     by_value
      - .offset:         104
        .size:           8
        .value_kind:     by_value
      - .address_space:  global
        .offset:         112
        .size:           8
        .value_kind:     global_buffer
      - .offset:         120
        .size:           8
        .value_kind:     by_value
      - .offset:         128
        .size:           8
        .value_kind:     by_value
      - .offset:         136
        .size:           4
        .value_kind:     by_value
      - .offset:         140
        .size:           4
        .value_kind:     by_value
      - .offset:         144
        .size:           1
        .value_kind:     by_value
    .group_segment_fixed_size: 6144
    .kernarg_segment_align: 8
    .kernarg_segment_size: 148
    .language:       OpenCL C
    .language_version:
      - 2
      - 0
    .max_flat_workgroup_size: 256
    .name:           _ZN9rocsparseL31bsrmm_large_blockdim_kernel_extILj16ELj16ELj2Ell21rocsparse_complex_numIfES2_S2_S2_EEvb20rocsparse_direction_T3_S4_llNS_24const_host_device_scalarIT7_EEPKT2_PKS4_PKT4_S4_PKT5_llS7_PT6_ll16rocsparse_order_21rocsparse_index_base_b
    .private_segment_fixed_size: 0
    .sgpr_count:     55
    .sgpr_spill_count: 0
    .symbol:         _ZN9rocsparseL31bsrmm_large_blockdim_kernel_extILj16ELj16ELj2Ell21rocsparse_complex_numIfES2_S2_S2_EEvb20rocsparse_direction_T3_S4_llNS_24const_host_device_scalarIT7_EEPKT2_PKS4_PKT4_S4_PKT5_llS7_PT6_ll16rocsparse_order_21rocsparse_index_base_b.kd
    .uniform_work_group_size: 1
    .uses_dynamic_stack: false
    .vgpr_count:     36
    .vgpr_spill_count: 0
    .wavefront_size: 64
  - .agpr_count:     0
    .args:
      - .offset:         0
        .size:           1
        .value_kind:     by_value
      - .offset:         4
        .size:           4
        .value_kind:     by_value
      - .offset:         8
        .size:           8
        .value_kind:     by_value
      - .offset:         16
        .size:           8
        .value_kind:     by_value
      - .offset:         24
        .size:           8
        .value_kind:     by_value
      - .offset:         32
        .size:           8
        .value_kind:     by_value
      - .offset:         40
        .size:           8
        .value_kind:     by_value
      - .actual_access:  read_only
        .address_space:  global
        .offset:         48
        .size:           8
        .value_kind:     global_buffer
      - .actual_access:  read_only
        .address_space:  global
        .offset:         56
        .size:           8
        .value_kind:     global_buffer
      - .actual_access:  read_only
        .address_space:  global
        .offset:         64
        .size:           8
        .value_kind:     global_buffer
      - .offset:         72
        .size:           8
        .value_kind:     by_value
      - .actual_access:  read_only
        .address_space:  global
        .offset:         80
        .size:           8
        .value_kind:     global_buffer
      - .offset:         88
        .size:           8
        .value_kind:     by_value
      - .offset:         96
        .size:           8
        .value_kind:     by_value
      - .offset:         104
        .size:           8
        .value_kind:     by_value
      - .address_space:  global
        .offset:         112
        .size:           8
        .value_kind:     global_buffer
      - .offset:         120
        .size:           8
        .value_kind:     by_value
      - .offset:         128
        .size:           8
        .value_kind:     by_value
      - .offset:         136
        .size:           4
        .value_kind:     by_value
      - .offset:         140
        .size:           4
        .value_kind:     by_value
      - .offset:         144
        .size:           1
        .value_kind:     by_value
    .group_segment_fixed_size: 24576
    .kernarg_segment_align: 8
    .kernarg_segment_size: 148
    .language:       OpenCL C
    .language_version:
      - 2
      - 0
    .max_flat_workgroup_size: 1024
    .name:           _ZN9rocsparseL31bsrmm_large_blockdim_kernel_extILj32ELj32ELj2Ell21rocsparse_complex_numIfES2_S2_S2_EEvb20rocsparse_direction_T3_S4_llNS_24const_host_device_scalarIT7_EEPKT2_PKS4_PKT4_S4_PKT5_llS7_PT6_ll16rocsparse_order_21rocsparse_index_base_b
    .private_segment_fixed_size: 0
    .sgpr_count:     53
    .sgpr_spill_count: 0
    .symbol:         _ZN9rocsparseL31bsrmm_large_blockdim_kernel_extILj32ELj32ELj2Ell21rocsparse_complex_numIfES2_S2_S2_EEvb20rocsparse_direction_T3_S4_llNS_24const_host_device_scalarIT7_EEPKT2_PKS4_PKT4_S4_PKT5_llS7_PT6_ll16rocsparse_order_21rocsparse_index_base_b.kd
    .uniform_work_group_size: 1
    .uses_dynamic_stack: false
    .vgpr_count:     38
    .vgpr_spill_count: 0
    .wavefront_size: 64
  - .agpr_count:     0
    .args:
      - .offset:         0
        .size:           1
        .value_kind:     by_value
      - .offset:         4
        .size:           4
        .value_kind:     by_value
      - .offset:         8
        .size:           4
        .value_kind:     by_value
      - .offset:         12
        .size:           4
        .value_kind:     by_value
      - .offset:         16
        .size:           8
        .value_kind:     by_value
      - .offset:         24
        .size:           8
        .value_kind:     by_value
      - .offset:         32
        .size:           16
        .value_kind:     by_value
      - .actual_access:  read_only
        .address_space:  global
        .offset:         48
        .size:           8
        .value_kind:     global_buffer
      - .actual_access:  read_only
        .address_space:  global
        .offset:         56
        .size:           8
        .value_kind:     global_buffer
      - .actual_access:  read_only
        .address_space:  global
        .offset:         64
        .size:           8
        .value_kind:     global_buffer
      - .offset:         72
        .size:           4
        .value_kind:     by_value
      - .actual_access:  read_only
        .address_space:  global
        .offset:         80
        .size:           8
        .value_kind:     global_buffer
      - .offset:         88
        .size:           8
        .value_kind:     by_value
      - .offset:         96
        .size:           8
        .value_kind:     by_value
      - .offset:         104
        .size:           16
        .value_kind:     by_value
      - .address_space:  global
        .offset:         120
        .size:           8
        .value_kind:     global_buffer
      - .offset:         128
        .size:           8
        .value_kind:     by_value
      - .offset:         136
        .size:           8
        .value_kind:     by_value
      - .offset:         144
        .size:           4
        .value_kind:     by_value
      - .offset:         148
        .size:           4
        .value_kind:     by_value
      - .offset:         152
        .size:           1
        .value_kind:     by_value
    .group_segment_fixed_size: 3072
    .kernarg_segment_align: 8
    .kernarg_segment_size: 156
    .language:       OpenCL C
    .language_version:
      - 2
      - 0
    .max_flat_workgroup_size: 64
    .name:           _ZN9rocsparseL31bsrmm_large_blockdim_kernel_extILj8ELj8ELj2Eii21rocsparse_complex_numIdES2_S2_S2_EEvb20rocsparse_direction_T3_S4_llNS_24const_host_device_scalarIT7_EEPKT2_PKS4_PKT4_S4_PKT5_llS7_PT6_ll16rocsparse_order_21rocsparse_index_base_b
    .private_segment_fixed_size: 0
    .sgpr_count:     42
    .sgpr_spill_count: 0
    .symbol:         _ZN9rocsparseL31bsrmm_large_blockdim_kernel_extILj8ELj8ELj2Eii21rocsparse_complex_numIdES2_S2_S2_EEvb20rocsparse_direction_T3_S4_llNS_24const_host_device_scalarIT7_EEPKT2_PKS4_PKT4_S4_PKT5_llS7_PT6_ll16rocsparse_order_21rocsparse_index_base_b.kd
    .uniform_work_group_size: 1
    .uses_dynamic_stack: false
    .vgpr_count:     44
    .vgpr_spill_count: 0
    .wavefront_size: 64
  - .agpr_count:     0
    .args:
      - .offset:         0
        .size:           1
        .value_kind:     by_value
      - .offset:         4
        .size:           4
        .value_kind:     by_value
      - .offset:         8
        .size:           4
        .value_kind:     by_value
      - .offset:         12
        .size:           4
        .value_kind:     by_value
      - .offset:         16
        .size:           8
        .value_kind:     by_value
      - .offset:         24
        .size:           8
        .value_kind:     by_value
      - .offset:         32
        .size:           16
        .value_kind:     by_value
      - .actual_access:  read_only
        .address_space:  global
        .offset:         48
        .size:           8
        .value_kind:     global_buffer
      - .actual_access:  read_only
        .address_space:  global
        .offset:         56
        .size:           8
        .value_kind:     global_buffer
      - .actual_access:  read_only
        .address_space:  global
        .offset:         64
        .size:           8
        .value_kind:     global_buffer
      - .offset:         72
        .size:           4
        .value_kind:     by_value
      - .actual_access:  read_only
        .address_space:  global
        .offset:         80
        .size:           8
        .value_kind:     global_buffer
      - .offset:         88
        .size:           8
        .value_kind:     by_value
      - .offset:         96
        .size:           8
        .value_kind:     by_value
      - .offset:         104
        .size:           16
        .value_kind:     by_value
      - .address_space:  global
        .offset:         120
        .size:           8
        .value_kind:     global_buffer
      - .offset:         128
        .size:           8
        .value_kind:     by_value
      - .offset:         136
        .size:           8
        .value_kind:     by_value
      - .offset:         144
        .size:           4
        .value_kind:     by_value
      - .offset:         148
        .size:           4
        .value_kind:     by_value
      - .offset:         152
        .size:           1
        .value_kind:     by_value
    .group_segment_fixed_size: 2304
    .kernarg_segment_align: 8
    .kernarg_segment_size: 156
    .language:       OpenCL C
    .language_version:
      - 2
      - 0
    .max_flat_workgroup_size: 64
    .name:           _ZN9rocsparseL31bsrmm_large_blockdim_kernel_extILj4ELj16ELj2Eii21rocsparse_complex_numIdES2_S2_S2_EEvb20rocsparse_direction_T3_S4_llNS_24const_host_device_scalarIT7_EEPKT2_PKS4_PKT4_S4_PKT5_llS7_PT6_ll16rocsparse_order_21rocsparse_index_base_b
    .private_segment_fixed_size: 0
    .sgpr_count:     42
    .sgpr_spill_count: 0
    .symbol:         _ZN9rocsparseL31bsrmm_large_blockdim_kernel_extILj4ELj16ELj2Eii21rocsparse_complex_numIdES2_S2_S2_EEvb20rocsparse_direction_T3_S4_llNS_24const_host_device_scalarIT7_EEPKT2_PKS4_PKT4_S4_PKT5_llS7_PT6_ll16rocsparse_order_21rocsparse_index_base_b.kd
    .uniform_work_group_size: 1
    .uses_dynamic_stack: false
    .vgpr_count:     44
    .vgpr_spill_count: 0
    .wavefront_size: 64
  - .agpr_count:     0
    .args:
      - .offset:         0
        .size:           1
        .value_kind:     by_value
      - .offset:         4
        .size:           4
        .value_kind:     by_value
      - .offset:         8
        .size:           4
        .value_kind:     by_value
      - .offset:         12
        .size:           4
        .value_kind:     by_value
      - .offset:         16
        .size:           8
        .value_kind:     by_value
      - .offset:         24
        .size:           8
        .value_kind:     by_value
      - .offset:         32
        .size:           16
        .value_kind:     by_value
      - .actual_access:  read_only
        .address_space:  global
        .offset:         48
        .size:           8
        .value_kind:     global_buffer
      - .actual_access:  read_only
        .address_space:  global
        .offset:         56
        .size:           8
        .value_kind:     global_buffer
      - .actual_access:  read_only
        .address_space:  global
        .offset:         64
        .size:           8
        .value_kind:     global_buffer
      - .offset:         72
        .size:           4
        .value_kind:     by_value
      - .actual_access:  read_only
        .address_space:  global
        .offset:         80
        .size:           8
        .value_kind:     global_buffer
      - .offset:         88
        .size:           8
        .value_kind:     by_value
      - .offset:         96
        .size:           8
        .value_kind:     by_value
      - .offset:         104
        .size:           16
        .value_kind:     by_value
      - .address_space:  global
        .offset:         120
        .size:           8
        .value_kind:     global_buffer
      - .offset:         128
        .size:           8
        .value_kind:     by_value
      - .offset:         136
        .size:           8
        .value_kind:     by_value
      - .offset:         144
        .size:           4
        .value_kind:     by_value
      - .offset:         148
        .size:           4
        .value_kind:     by_value
      - .offset:         152
        .size:           1
        .value_kind:     by_value
    .group_segment_fixed_size: 12288
    .kernarg_segment_align: 8
    .kernarg_segment_size: 156
    .language:       OpenCL C
    .language_version:
      - 2
      - 0
    .max_flat_workgroup_size: 256
    .name:           _ZN9rocsparseL31bsrmm_large_blockdim_kernel_extILj16ELj16ELj2Eii21rocsparse_complex_numIdES2_S2_S2_EEvb20rocsparse_direction_T3_S4_llNS_24const_host_device_scalarIT7_EEPKT2_PKS4_PKT4_S4_PKT5_llS7_PT6_ll16rocsparse_order_21rocsparse_index_base_b
    .private_segment_fixed_size: 0
    .sgpr_count:     42
    .sgpr_spill_count: 0
    .symbol:         _ZN9rocsparseL31bsrmm_large_blockdim_kernel_extILj16ELj16ELj2Eii21rocsparse_complex_numIdES2_S2_S2_EEvb20rocsparse_direction_T3_S4_llNS_24const_host_device_scalarIT7_EEPKT2_PKS4_PKT4_S4_PKT5_llS7_PT6_ll16rocsparse_order_21rocsparse_index_base_b.kd
    .uniform_work_group_size: 1
    .uses_dynamic_stack: false
    .vgpr_count:     44
    .vgpr_spill_count: 0
    .wavefront_size: 64
  - .agpr_count:     0
    .args:
      - .offset:         0
        .size:           1
        .value_kind:     by_value
      - .offset:         4
        .size:           4
        .value_kind:     by_value
      - .offset:         8
        .size:           4
        .value_kind:     by_value
      - .offset:         12
        .size:           4
        .value_kind:     by_value
      - .offset:         16
        .size:           8
        .value_kind:     by_value
      - .offset:         24
        .size:           8
        .value_kind:     by_value
      - .offset:         32
        .size:           16
        .value_kind:     by_value
      - .actual_access:  read_only
        .address_space:  global
        .offset:         48
        .size:           8
        .value_kind:     global_buffer
      - .actual_access:  read_only
        .address_space:  global
        .offset:         56
        .size:           8
        .value_kind:     global_buffer
      - .actual_access:  read_only
        .address_space:  global
        .offset:         64
        .size:           8
        .value_kind:     global_buffer
      - .offset:         72
        .size:           4
        .value_kind:     by_value
      - .actual_access:  read_only
        .address_space:  global
        .offset:         80
        .size:           8
        .value_kind:     global_buffer
      - .offset:         88
        .size:           8
        .value_kind:     by_value
      - .offset:         96
        .size:           8
        .value_kind:     by_value
      - .offset:         104
        .size:           16
        .value_kind:     by_value
      - .address_space:  global
        .offset:         120
        .size:           8
        .value_kind:     global_buffer
      - .offset:         128
        .size:           8
        .value_kind:     by_value
      - .offset:         136
        .size:           8
        .value_kind:     by_value
      - .offset:         144
        .size:           4
        .value_kind:     by_value
      - .offset:         148
        .size:           4
        .value_kind:     by_value
      - .offset:         152
        .size:           1
        .value_kind:     by_value
    .group_segment_fixed_size: 49152
    .kernarg_segment_align: 8
    .kernarg_segment_size: 156
    .language:       OpenCL C
    .language_version:
      - 2
      - 0
    .max_flat_workgroup_size: 1024
    .name:           _ZN9rocsparseL31bsrmm_large_blockdim_kernel_extILj32ELj32ELj2Eii21rocsparse_complex_numIdES2_S2_S2_EEvb20rocsparse_direction_T3_S4_llNS_24const_host_device_scalarIT7_EEPKT2_PKS4_PKT4_S4_PKT5_llS7_PT6_ll16rocsparse_order_21rocsparse_index_base_b
    .private_segment_fixed_size: 0
    .sgpr_count:     42
    .sgpr_spill_count: 0
    .symbol:         _ZN9rocsparseL31bsrmm_large_blockdim_kernel_extILj32ELj32ELj2Eii21rocsparse_complex_numIdES2_S2_S2_EEvb20rocsparse_direction_T3_S4_llNS_24const_host_device_scalarIT7_EEPKT2_PKS4_PKT4_S4_PKT5_llS7_PT6_ll16rocsparse_order_21rocsparse_index_base_b.kd
    .uniform_work_group_size: 1
    .uses_dynamic_stack: false
    .vgpr_count:     44
    .vgpr_spill_count: 0
    .wavefront_size: 64
  - .agpr_count:     0
    .args:
      - .offset:         0
        .size:           1
        .value_kind:     by_value
      - .offset:         4
        .size:           4
        .value_kind:     by_value
      - .offset:         8
        .size:           4
        .value_kind:     by_value
      - .offset:         12
        .size:           4
        .value_kind:     by_value
      - .offset:         16
        .size:           8
        .value_kind:     by_value
      - .offset:         24
        .size:           8
        .value_kind:     by_value
      - .offset:         32
        .size:           16
        .value_kind:     by_value
      - .actual_access:  read_only
        .address_space:  global
        .offset:         48
        .size:           8
        .value_kind:     global_buffer
      - .actual_access:  read_only
        .address_space:  global
        .offset:         56
        .size:           8
        .value_kind:     global_buffer
      - .actual_access:  read_only
        .address_space:  global
        .offset:         64
        .size:           8
        .value_kind:     global_buffer
      - .offset:         72
        .size:           4
        .value_kind:     by_value
      - .actual_access:  read_only
        .address_space:  global
        .offset:         80
        .size:           8
        .value_kind:     global_buffer
      - .offset:         88
        .size:           8
        .value_kind:     by_value
      - .offset:         96
        .size:           8
        .value_kind:     by_value
      - .offset:         104
        .size:           16
        .value_kind:     by_value
      - .address_space:  global
        .offset:         120
        .size:           8
        .value_kind:     global_buffer
      - .offset:         128
        .size:           8
        .value_kind:     by_value
      - .offset:         136
        .size:           8
        .value_kind:     by_value
      - .offset:         144
        .size:           4
        .value_kind:     by_value
      - .offset:         148
        .size:           4
        .value_kind:     by_value
      - .offset:         152
        .size:           1
        .value_kind:     by_value
    .group_segment_fixed_size: 3072
    .kernarg_segment_align: 8
    .kernarg_segment_size: 156
    .language:       OpenCL C
    .language_version:
      - 2
      - 0
    .max_flat_workgroup_size: 64
    .name:           _ZN9rocsparseL31bsrmm_large_blockdim_kernel_extILj8ELj8ELj2Eli21rocsparse_complex_numIdES2_S2_S2_EEvb20rocsparse_direction_T3_S4_llNS_24const_host_device_scalarIT7_EEPKT2_PKS4_PKT4_S4_PKT5_llS7_PT6_ll16rocsparse_order_21rocsparse_index_base_b
    .private_segment_fixed_size: 0
    .sgpr_count:     44
    .sgpr_spill_count: 0
    .symbol:         _ZN9rocsparseL31bsrmm_large_blockdim_kernel_extILj8ELj8ELj2Eli21rocsparse_complex_numIdES2_S2_S2_EEvb20rocsparse_direction_T3_S4_llNS_24const_host_device_scalarIT7_EEPKT2_PKS4_PKT4_S4_PKT5_llS7_PT6_ll16rocsparse_order_21rocsparse_index_base_b.kd
    .uniform_work_group_size: 1
    .uses_dynamic_stack: false
    .vgpr_count:     46
    .vgpr_spill_count: 0
    .wavefront_size: 64
  - .agpr_count:     0
    .args:
      - .offset:         0
        .size:           1
        .value_kind:     by_value
      - .offset:         4
        .size:           4
        .value_kind:     by_value
      - .offset:         8
        .size:           4
        .value_kind:     by_value
      - .offset:         12
        .size:           4
        .value_kind:     by_value
      - .offset:         16
        .size:           8
        .value_kind:     by_value
      - .offset:         24
        .size:           8
        .value_kind:     by_value
      - .offset:         32
        .size:           16
        .value_kind:     by_value
      - .actual_access:  read_only
        .address_space:  global
        .offset:         48
        .size:           8
        .value_kind:     global_buffer
      - .actual_access:  read_only
        .address_space:  global
        .offset:         56
        .size:           8
        .value_kind:     global_buffer
      - .actual_access:  read_only
        .address_space:  global
        .offset:         64
        .size:           8
        .value_kind:     global_buffer
      - .offset:         72
        .size:           4
        .value_kind:     by_value
      - .actual_access:  read_only
        .address_space:  global
        .offset:         80
        .size:           8
        .value_kind:     global_buffer
      - .offset:         88
        .size:           8
        .value_kind:     by_value
      - .offset:         96
        .size:           8
        .value_kind:     by_value
      - .offset:         104
        .size:           16
        .value_kind:     by_value
      - .address_space:  global
        .offset:         120
        .size:           8
        .value_kind:     global_buffer
      - .offset:         128
        .size:           8
        .value_kind:     by_value
      - .offset:         136
        .size:           8
        .value_kind:     by_value
      - .offset:         144
        .size:           4
        .value_kind:     by_value
      - .offset:         148
        .size:           4
        .value_kind:     by_value
      - .offset:         152
        .size:           1
        .value_kind:     by_value
    .group_segment_fixed_size: 2304
    .kernarg_segment_align: 8
    .kernarg_segment_size: 156
    .language:       OpenCL C
    .language_version:
      - 2
      - 0
    .max_flat_workgroup_size: 64
    .name:           _ZN9rocsparseL31bsrmm_large_blockdim_kernel_extILj4ELj16ELj2Eli21rocsparse_complex_numIdES2_S2_S2_EEvb20rocsparse_direction_T3_S4_llNS_24const_host_device_scalarIT7_EEPKT2_PKS4_PKT4_S4_PKT5_llS7_PT6_ll16rocsparse_order_21rocsparse_index_base_b
    .private_segment_fixed_size: 0
    .sgpr_count:     44
    .sgpr_spill_count: 0
    .symbol:         _ZN9rocsparseL31bsrmm_large_blockdim_kernel_extILj4ELj16ELj2Eli21rocsparse_complex_numIdES2_S2_S2_EEvb20rocsparse_direction_T3_S4_llNS_24const_host_device_scalarIT7_EEPKT2_PKS4_PKT4_S4_PKT5_llS7_PT6_ll16rocsparse_order_21rocsparse_index_base_b.kd
    .uniform_work_group_size: 1
    .uses_dynamic_stack: false
    .vgpr_count:     46
    .vgpr_spill_count: 0
    .wavefront_size: 64
  - .agpr_count:     0
    .args:
      - .offset:         0
        .size:           1
        .value_kind:     by_value
      - .offset:         4
        .size:           4
        .value_kind:     by_value
      - .offset:         8
        .size:           4
        .value_kind:     by_value
      - .offset:         12
        .size:           4
        .value_kind:     by_value
      - .offset:         16
        .size:           8
        .value_kind:     by_value
      - .offset:         24
        .size:           8
        .value_kind:     by_value
      - .offset:         32
        .size:           16
        .value_kind:     by_value
      - .actual_access:  read_only
        .address_space:  global
        .offset:         48
        .size:           8
        .value_kind:     global_buffer
      - .actual_access:  read_only
        .address_space:  global
        .offset:         56
        .size:           8
        .value_kind:     global_buffer
      - .actual_access:  read_only
        .address_space:  global
        .offset:         64
        .size:           8
        .value_kind:     global_buffer
      - .offset:         72
        .size:           4
        .value_kind:     by_value
      - .actual_access:  read_only
        .address_space:  global
        .offset:         80
        .size:           8
        .value_kind:     global_buffer
      - .offset:         88
        .size:           8
        .value_kind:     by_value
      - .offset:         96
        .size:           8
        .value_kind:     by_value
      - .offset:         104
        .size:           16
        .value_kind:     by_value
      - .address_space:  global
        .offset:         120
        .size:           8
        .value_kind:     global_buffer
      - .offset:         128
        .size:           8
        .value_kind:     by_value
      - .offset:         136
        .size:           8
        .value_kind:     by_value
      - .offset:         144
        .size:           4
        .value_kind:     by_value
      - .offset:         148
        .size:           4
        .value_kind:     by_value
      - .offset:         152
        .size:           1
        .value_kind:     by_value
    .group_segment_fixed_size: 12288
    .kernarg_segment_align: 8
    .kernarg_segment_size: 156
    .language:       OpenCL C
    .language_version:
      - 2
      - 0
    .max_flat_workgroup_size: 256
    .name:           _ZN9rocsparseL31bsrmm_large_blockdim_kernel_extILj16ELj16ELj2Eli21rocsparse_complex_numIdES2_S2_S2_EEvb20rocsparse_direction_T3_S4_llNS_24const_host_device_scalarIT7_EEPKT2_PKS4_PKT4_S4_PKT5_llS7_PT6_ll16rocsparse_order_21rocsparse_index_base_b
    .private_segment_fixed_size: 0
    .sgpr_count:     44
    .sgpr_spill_count: 0
    .symbol:         _ZN9rocsparseL31bsrmm_large_blockdim_kernel_extILj16ELj16ELj2Eli21rocsparse_complex_numIdES2_S2_S2_EEvb20rocsparse_direction_T3_S4_llNS_24const_host_device_scalarIT7_EEPKT2_PKS4_PKT4_S4_PKT5_llS7_PT6_ll16rocsparse_order_21rocsparse_index_base_b.kd
    .uniform_work_group_size: 1
    .uses_dynamic_stack: false
    .vgpr_count:     48
    .vgpr_spill_count: 0
    .wavefront_size: 64
  - .agpr_count:     0
    .args:
      - .offset:         0
        .size:           1
        .value_kind:     by_value
      - .offset:         4
        .size:           4
        .value_kind:     by_value
      - .offset:         8
        .size:           4
        .value_kind:     by_value
      - .offset:         12
        .size:           4
        .value_kind:     by_value
      - .offset:         16
        .size:           8
        .value_kind:     by_value
      - .offset:         24
        .size:           8
        .value_kind:     by_value
      - .offset:         32
        .size:           16
        .value_kind:     by_value
      - .actual_access:  read_only
        .address_space:  global
        .offset:         48
        .size:           8
        .value_kind:     global_buffer
      - .actual_access:  read_only
        .address_space:  global
        .offset:         56
        .size:           8
        .value_kind:     global_buffer
      - .actual_access:  read_only
        .address_space:  global
        .offset:         64
        .size:           8
        .value_kind:     global_buffer
      - .offset:         72
        .size:           4
        .value_kind:     by_value
      - .actual_access:  read_only
        .address_space:  global
        .offset:         80
        .size:           8
        .value_kind:     global_buffer
      - .offset:         88
        .size:           8
        .value_kind:     by_value
      - .offset:         96
        .size:           8
        .value_kind:     by_value
      - .offset:         104
        .size:           16
        .value_kind:     by_value
      - .address_space:  global
        .offset:         120
        .size:           8
        .value_kind:     global_buffer
      - .offset:         128
        .size:           8
        .value_kind:     by_value
      - .offset:         136
        .size:           8
        .value_kind:     by_value
      - .offset:         144
        .size:           4
        .value_kind:     by_value
      - .offset:         148
        .size:           4
        .value_kind:     by_value
      - .offset:         152
        .size:           1
        .value_kind:     by_value
    .group_segment_fixed_size: 49152
    .kernarg_segment_align: 8
    .kernarg_segment_size: 156
    .language:       OpenCL C
    .language_version:
      - 2
      - 0
    .max_flat_workgroup_size: 1024
    .name:           _ZN9rocsparseL31bsrmm_large_blockdim_kernel_extILj32ELj32ELj2Eli21rocsparse_complex_numIdES2_S2_S2_EEvb20rocsparse_direction_T3_S4_llNS_24const_host_device_scalarIT7_EEPKT2_PKS4_PKT4_S4_PKT5_llS7_PT6_ll16rocsparse_order_21rocsparse_index_base_b
    .private_segment_fixed_size: 0
    .sgpr_count:     44
    .sgpr_spill_count: 0
    .symbol:         _ZN9rocsparseL31bsrmm_large_blockdim_kernel_extILj32ELj32ELj2Eli21rocsparse_complex_numIdES2_S2_S2_EEvb20rocsparse_direction_T3_S4_llNS_24const_host_device_scalarIT7_EEPKT2_PKS4_PKT4_S4_PKT5_llS7_PT6_ll16rocsparse_order_21rocsparse_index_base_b.kd
    .uniform_work_group_size: 1
    .uses_dynamic_stack: false
    .vgpr_count:     46
    .vgpr_spill_count: 0
    .wavefront_size: 64
  - .agpr_count:     0
    .args:
      - .offset:         0
        .size:           1
        .value_kind:     by_value
      - .offset:         4
        .size:           4
        .value_kind:     by_value
      - .offset:         8
        .size:           8
        .value_kind:     by_value
      - .offset:         16
        .size:           8
        .value_kind:     by_value
      - .offset:         24
        .size:           8
        .value_kind:     by_value
      - .offset:         32
        .size:           8
        .value_kind:     by_value
      - .offset:         40
        .size:           16
        .value_kind:     by_value
      - .actual_access:  read_only
        .address_space:  global
        .offset:         56
        .size:           8
        .value_kind:     global_buffer
      - .actual_access:  read_only
        .address_space:  global
        .offset:         64
        .size:           8
        .value_kind:     global_buffer
      - .actual_access:  read_only
        .address_space:  global
        .offset:         72
        .size:           8
        .value_kind:     global_buffer
      - .offset:         80
        .size:           8
        .value_kind:     by_value
      - .actual_access:  read_only
        .address_space:  global
        .offset:         88
        .size:           8
        .value_kind:     global_buffer
      - .offset:         96
        .size:           8
        .value_kind:     by_value
      - .offset:         104
        .size:           8
        .value_kind:     by_value
      - .offset:         112
        .size:           16
        .value_kind:     by_value
      - .address_space:  global
        .offset:         128
        .size:           8
        .value_kind:     global_buffer
      - .offset:         136
        .size:           8
        .value_kind:     by_value
      - .offset:         144
        .size:           8
        .value_kind:     by_value
      - .offset:         152
        .size:           4
        .value_kind:     by_value
      - .offset:         156
        .size:           4
        .value_kind:     by_value
      - .offset:         160
        .size:           1
        .value_kind:     by_value
    .group_segment_fixed_size: 3072
    .kernarg_segment_align: 8
    .kernarg_segment_size: 164
    .language:       OpenCL C
    .language_version:
      - 2
      - 0
    .max_flat_workgroup_size: 64
    .name:           _ZN9rocsparseL31bsrmm_large_blockdim_kernel_extILj8ELj8ELj2Ell21rocsparse_complex_numIdES2_S2_S2_EEvb20rocsparse_direction_T3_S4_llNS_24const_host_device_scalarIT7_EEPKT2_PKS4_PKT4_S4_PKT5_llS7_PT6_ll16rocsparse_order_21rocsparse_index_base_b
    .private_segment_fixed_size: 0
    .sgpr_count:     53
    .sgpr_spill_count: 0
    .symbol:         _ZN9rocsparseL31bsrmm_large_blockdim_kernel_extILj8ELj8ELj2Ell21rocsparse_complex_numIdES2_S2_S2_EEvb20rocsparse_direction_T3_S4_llNS_24const_host_device_scalarIT7_EEPKT2_PKS4_PKT4_S4_PKT5_llS7_PT6_ll16rocsparse_order_21rocsparse_index_base_b.kd
    .uniform_work_group_size: 1
    .uses_dynamic_stack: false
    .vgpr_count:     48
    .vgpr_spill_count: 0
    .wavefront_size: 64
  - .agpr_count:     0
    .args:
      - .offset:         0
        .size:           1
        .value_kind:     by_value
      - .offset:         4
        .size:           4
        .value_kind:     by_value
      - .offset:         8
        .size:           8
        .value_kind:     by_value
      - .offset:         16
        .size:           8
        .value_kind:     by_value
      - .offset:         24
        .size:           8
        .value_kind:     by_value
      - .offset:         32
        .size:           8
        .value_kind:     by_value
      - .offset:         40
        .size:           16
        .value_kind:     by_value
      - .actual_access:  read_only
        .address_space:  global
        .offset:         56
        .size:           8
        .value_kind:     global_buffer
      - .actual_access:  read_only
        .address_space:  global
        .offset:         64
        .size:           8
        .value_kind:     global_buffer
      - .actual_access:  read_only
        .address_space:  global
        .offset:         72
        .size:           8
        .value_kind:     global_buffer
      - .offset:         80
        .size:           8
        .value_kind:     by_value
      - .actual_access:  read_only
        .address_space:  global
        .offset:         88
        .size:           8
        .value_kind:     global_buffer
      - .offset:         96
        .size:           8
        .value_kind:     by_value
      - .offset:         104
        .size:           8
        .value_kind:     by_value
      - .offset:         112
        .size:           16
        .value_kind:     by_value
      - .address_space:  global
        .offset:         128
        .size:           8
        .value_kind:     global_buffer
      - .offset:         136
        .size:           8
        .value_kind:     by_value
      - .offset:         144
        .size:           8
        .value_kind:     by_value
      - .offset:         152
        .size:           4
        .value_kind:     by_value
      - .offset:         156
        .size:           4
        .value_kind:     by_value
      - .offset:         160
        .size:           1
        .value_kind:     by_value
    .group_segment_fixed_size: 2304
    .kernarg_segment_align: 8
    .kernarg_segment_size: 164
    .language:       OpenCL C
    .language_version:
      - 2
      - 0
    .max_flat_workgroup_size: 64
    .name:           _ZN9rocsparseL31bsrmm_large_blockdim_kernel_extILj4ELj16ELj2Ell21rocsparse_complex_numIdES2_S2_S2_EEvb20rocsparse_direction_T3_S4_llNS_24const_host_device_scalarIT7_EEPKT2_PKS4_PKT4_S4_PKT5_llS7_PT6_ll16rocsparse_order_21rocsparse_index_base_b
    .private_segment_fixed_size: 0
    .sgpr_count:     53
    .sgpr_spill_count: 0
    .symbol:         _ZN9rocsparseL31bsrmm_large_blockdim_kernel_extILj4ELj16ELj2Ell21rocsparse_complex_numIdES2_S2_S2_EEvb20rocsparse_direction_T3_S4_llNS_24const_host_device_scalarIT7_EEPKT2_PKS4_PKT4_S4_PKT5_llS7_PT6_ll16rocsparse_order_21rocsparse_index_base_b.kd
    .uniform_work_group_size: 1
    .uses_dynamic_stack: false
    .vgpr_count:     48
    .vgpr_spill_count: 0
    .wavefront_size: 64
  - .agpr_count:     0
    .args:
      - .offset:         0
        .size:           1
        .value_kind:     by_value
      - .offset:         4
        .size:           4
        .value_kind:     by_value
      - .offset:         8
        .size:           8
        .value_kind:     by_value
      - .offset:         16
        .size:           8
        .value_kind:     by_value
      - .offset:         24
        .size:           8
        .value_kind:     by_value
      - .offset:         32
        .size:           8
        .value_kind:     by_value
      - .offset:         40
        .size:           16
        .value_kind:     by_value
      - .actual_access:  read_only
        .address_space:  global
        .offset:         56
        .size:           8
        .value_kind:     global_buffer
      - .actual_access:  read_only
        .address_space:  global
        .offset:         64
        .size:           8
        .value_kind:     global_buffer
      - .actual_access:  read_only
        .address_space:  global
        .offset:         72
        .size:           8
        .value_kind:     global_buffer
      - .offset:         80
        .size:           8
        .value_kind:     by_value
      - .actual_access:  read_only
        .address_space:  global
        .offset:         88
        .size:           8
        .value_kind:     global_buffer
      - .offset:         96
        .size:           8
        .value_kind:     by_value
      - .offset:         104
        .size:           8
        .value_kind:     by_value
      - .offset:         112
        .size:           16
        .value_kind:     by_value
      - .address_space:  global
        .offset:         128
        .size:           8
        .value_kind:     global_buffer
      - .offset:         136
        .size:           8
        .value_kind:     by_value
      - .offset:         144
        .size:           8
        .value_kind:     by_value
      - .offset:         152
        .size:           4
        .value_kind:     by_value
      - .offset:         156
        .size:           4
        .value_kind:     by_value
      - .offset:         160
        .size:           1
        .value_kind:     by_value
    .group_segment_fixed_size: 12288
    .kernarg_segment_align: 8
    .kernarg_segment_size: 164
    .language:       OpenCL C
    .language_version:
      - 2
      - 0
    .max_flat_workgroup_size: 256
    .name:           _ZN9rocsparseL31bsrmm_large_blockdim_kernel_extILj16ELj16ELj2Ell21rocsparse_complex_numIdES2_S2_S2_EEvb20rocsparse_direction_T3_S4_llNS_24const_host_device_scalarIT7_EEPKT2_PKS4_PKT4_S4_PKT5_llS7_PT6_ll16rocsparse_order_21rocsparse_index_base_b
    .private_segment_fixed_size: 0
    .sgpr_count:     51
    .sgpr_spill_count: 0
    .symbol:         _ZN9rocsparseL31bsrmm_large_blockdim_kernel_extILj16ELj16ELj2Ell21rocsparse_complex_numIdES2_S2_S2_EEvb20rocsparse_direction_T3_S4_llNS_24const_host_device_scalarIT7_EEPKT2_PKS4_PKT4_S4_PKT5_llS7_PT6_ll16rocsparse_order_21rocsparse_index_base_b.kd
    .uniform_work_group_size: 1
    .uses_dynamic_stack: false
    .vgpr_count:     50
    .vgpr_spill_count: 0
    .wavefront_size: 64
  - .agpr_count:     0
    .args:
      - .offset:         0
        .size:           1
        .value_kind:     by_value
      - .offset:         4
        .size:           4
        .value_kind:     by_value
      - .offset:         8
        .size:           8
        .value_kind:     by_value
      - .offset:         16
        .size:           8
        .value_kind:     by_value
      - .offset:         24
        .size:           8
        .value_kind:     by_value
      - .offset:         32
        .size:           8
        .value_kind:     by_value
      - .offset:         40
        .size:           16
        .value_kind:     by_value
      - .actual_access:  read_only
        .address_space:  global
        .offset:         56
        .size:           8
        .value_kind:     global_buffer
      - .actual_access:  read_only
        .address_space:  global
        .offset:         64
        .size:           8
        .value_kind:     global_buffer
      - .actual_access:  read_only
        .address_space:  global
        .offset:         72
        .size:           8
        .value_kind:     global_buffer
      - .offset:         80
        .size:           8
        .value_kind:     by_value
      - .actual_access:  read_only
        .address_space:  global
        .offset:         88
        .size:           8
        .value_kind:     global_buffer
      - .offset:         96
        .size:           8
        .value_kind:     by_value
      - .offset:         104
        .size:           8
        .value_kind:     by_value
      - .offset:         112
        .size:           16
        .value_kind:     by_value
      - .address_space:  global
        .offset:         128
        .size:           8
        .value_kind:     global_buffer
      - .offset:         136
        .size:           8
        .value_kind:     by_value
      - .offset:         144
        .size:           8
        .value_kind:     by_value
      - .offset:         152
        .size:           4
        .value_kind:     by_value
      - .offset:         156
        .size:           4
        .value_kind:     by_value
      - .offset:         160
        .size:           1
        .value_kind:     by_value
    .group_segment_fixed_size: 49152
    .kernarg_segment_align: 8
    .kernarg_segment_size: 164
    .language:       OpenCL C
    .language_version:
      - 2
      - 0
    .max_flat_workgroup_size: 1024
    .name:           _ZN9rocsparseL31bsrmm_large_blockdim_kernel_extILj32ELj32ELj2Ell21rocsparse_complex_numIdES2_S2_S2_EEvb20rocsparse_direction_T3_S4_llNS_24const_host_device_scalarIT7_EEPKT2_PKS4_PKT4_S4_PKT5_llS7_PT6_ll16rocsparse_order_21rocsparse_index_base_b
    .private_segment_fixed_size: 0
    .sgpr_count:     53
    .sgpr_spill_count: 0
    .symbol:         _ZN9rocsparseL31bsrmm_large_blockdim_kernel_extILj32ELj32ELj2Ell21rocsparse_complex_numIdES2_S2_S2_EEvb20rocsparse_direction_T3_S4_llNS_24const_host_device_scalarIT7_EEPKT2_PKS4_PKT4_S4_PKT5_llS7_PT6_ll16rocsparse_order_21rocsparse_index_base_b.kd
    .uniform_work_group_size: 1
    .uses_dynamic_stack: false
    .vgpr_count:     48
    .vgpr_spill_count: 0
    .wavefront_size: 64
  - .agpr_count:     0
    .args:
      - .offset:         0
        .size:           1
        .value_kind:     by_value
      - .offset:         4
        .size:           4
        .value_kind:     by_value
      - .offset:         8
        .size:           4
        .value_kind:     by_value
      - .offset:         12
        .size:           4
        .value_kind:     by_value
      - .offset:         16
        .size:           8
        .value_kind:     by_value
      - .offset:         24
        .size:           8
        .value_kind:     by_value
      - .offset:         32
        .size:           8
        .value_kind:     by_value
      - .actual_access:  read_only
        .address_space:  global
        .offset:         40
        .size:           8
        .value_kind:     global_buffer
      - .actual_access:  read_only
        .address_space:  global
        .offset:         48
        .size:           8
        .value_kind:     global_buffer
      - .actual_access:  read_only
        .address_space:  global
        .offset:         56
        .size:           8
        .value_kind:     global_buffer
      - .offset:         64
        .size:           4
        .value_kind:     by_value
      - .actual_access:  read_only
        .address_space:  global
        .offset:         72
        .size:           8
        .value_kind:     global_buffer
      - .offset:         80
        .size:           8
        .value_kind:     by_value
      - .offset:         88
        .size:           8
        .value_kind:     by_value
      - .offset:         96
        .size:           8
        .value_kind:     by_value
      - .address_space:  global
        .offset:         104
        .size:           8
        .value_kind:     global_buffer
      - .offset:         112
        .size:           8
        .value_kind:     by_value
      - .offset:         120
        .size:           8
        .value_kind:     by_value
      - .offset:         128
        .size:           4
        .value_kind:     by_value
      - .offset:         132
        .size:           4
        .value_kind:     by_value
      - .offset:         136
        .size:           1
        .value_kind:     by_value
    .group_segment_fixed_size: 768
    .kernarg_segment_align: 8
    .kernarg_segment_size: 140
    .language:       OpenCL C
    .language_version:
      - 2
      - 0
    .max_flat_workgroup_size: 64
    .name:           _ZN9rocsparseL31bsrmm_large_blockdim_kernel_extILj8ELj8ELj2EiiDF16_DF16_ffEEvb20rocsparse_direction_T3_S2_llNS_24const_host_device_scalarIT7_EEPKT2_PKS2_PKT4_S2_PKT5_llS5_PT6_ll16rocsparse_order_21rocsparse_index_base_b
    .private_segment_fixed_size: 0
    .sgpr_count:     46
    .sgpr_spill_count: 0
    .symbol:         _ZN9rocsparseL31bsrmm_large_blockdim_kernel_extILj8ELj8ELj2EiiDF16_DF16_ffEEvb20rocsparse_direction_T3_S2_llNS_24const_host_device_scalarIT7_EEPKT2_PKS2_PKT4_S2_PKT5_llS5_PT6_ll16rocsparse_order_21rocsparse_index_base_b.kd
    .uniform_work_group_size: 1
    .uses_dynamic_stack: false
    .vgpr_count:     26
    .vgpr_spill_count: 0
    .wavefront_size: 64
  - .agpr_count:     0
    .args:
      - .offset:         0
        .size:           1
        .value_kind:     by_value
      - .offset:         4
        .size:           4
        .value_kind:     by_value
      - .offset:         8
        .size:           4
        .value_kind:     by_value
      - .offset:         12
        .size:           4
        .value_kind:     by_value
      - .offset:         16
        .size:           8
        .value_kind:     by_value
      - .offset:         24
        .size:           8
        .value_kind:     by_value
      - .offset:         32
        .size:           8
        .value_kind:     by_value
      - .actual_access:  read_only
        .address_space:  global
        .offset:         40
        .size:           8
        .value_kind:     global_buffer
      - .actual_access:  read_only
        .address_space:  global
        .offset:         48
        .size:           8
        .value_kind:     global_buffer
      - .actual_access:  read_only
        .address_space:  global
        .offset:         56
        .size:           8
        .value_kind:     global_buffer
      - .offset:         64
        .size:           4
        .value_kind:     by_value
      - .actual_access:  read_only
        .address_space:  global
        .offset:         72
        .size:           8
        .value_kind:     global_buffer
      - .offset:         80
        .size:           8
        .value_kind:     by_value
      - .offset:         88
        .size:           8
        .value_kind:     by_value
      - .offset:         96
        .size:           8
        .value_kind:     by_value
      - .address_space:  global
        .offset:         104
        .size:           8
        .value_kind:     global_buffer
      - .offset:         112
        .size:           8
        .value_kind:     by_value
      - .offset:         120
        .size:           8
        .value_kind:     by_value
      - .offset:         128
        .size:           4
        .value_kind:     by_value
      - .offset:         132
        .size:           4
        .value_kind:     by_value
      - .offset:         136
        .size:           1
        .value_kind:     by_value
    .group_segment_fixed_size: 576
    .kernarg_segment_align: 8
    .kernarg_segment_size: 140
    .language:       OpenCL C
    .language_version:
      - 2
      - 0
    .max_flat_workgroup_size: 64
    .name:           _ZN9rocsparseL31bsrmm_large_blockdim_kernel_extILj4ELj16ELj2EiiDF16_DF16_ffEEvb20rocsparse_direction_T3_S2_llNS_24const_host_device_scalarIT7_EEPKT2_PKS2_PKT4_S2_PKT5_llS5_PT6_ll16rocsparse_order_21rocsparse_index_base_b
    .private_segment_fixed_size: 0
    .sgpr_count:     46
    .sgpr_spill_count: 0
    .symbol:         _ZN9rocsparseL31bsrmm_large_blockdim_kernel_extILj4ELj16ELj2EiiDF16_DF16_ffEEvb20rocsparse_direction_T3_S2_llNS_24const_host_device_scalarIT7_EEPKT2_PKS2_PKT4_S2_PKT5_llS5_PT6_ll16rocsparse_order_21rocsparse_index_base_b.kd
    .uniform_work_group_size: 1
    .uses_dynamic_stack: false
    .vgpr_count:     26
    .vgpr_spill_count: 0
    .wavefront_size: 64
  - .agpr_count:     0
    .args:
      - .offset:         0
        .size:           1
        .value_kind:     by_value
      - .offset:         4
        .size:           4
        .value_kind:     by_value
      - .offset:         8
        .size:           4
        .value_kind:     by_value
      - .offset:         12
        .size:           4
        .value_kind:     by_value
      - .offset:         16
        .size:           8
        .value_kind:     by_value
      - .offset:         24
        .size:           8
        .value_kind:     by_value
      - .offset:         32
        .size:           8
        .value_kind:     by_value
      - .actual_access:  read_only
        .address_space:  global
        .offset:         40
        .size:           8
        .value_kind:     global_buffer
      - .actual_access:  read_only
        .address_space:  global
        .offset:         48
        .size:           8
        .value_kind:     global_buffer
      - .actual_access:  read_only
        .address_space:  global
        .offset:         56
        .size:           8
        .value_kind:     global_buffer
      - .offset:         64
        .size:           4
        .value_kind:     by_value
      - .actual_access:  read_only
        .address_space:  global
        .offset:         72
        .size:           8
        .value_kind:     global_buffer
      - .offset:         80
        .size:           8
        .value_kind:     by_value
      - .offset:         88
        .size:           8
        .value_kind:     by_value
      - .offset:         96
        .size:           8
        .value_kind:     by_value
      - .address_space:  global
        .offset:         104
        .size:           8
        .value_kind:     global_buffer
      - .offset:         112
        .size:           8
        .value_kind:     by_value
      - .offset:         120
        .size:           8
        .value_kind:     by_value
      - .offset:         128
        .size:           4
        .value_kind:     by_value
      - .offset:         132
        .size:           4
        .value_kind:     by_value
      - .offset:         136
        .size:           1
        .value_kind:     by_value
    .group_segment_fixed_size: 3072
    .kernarg_segment_align: 8
    .kernarg_segment_size: 140
    .language:       OpenCL C
    .language_version:
      - 2
      - 0
    .max_flat_workgroup_size: 256
    .name:           _ZN9rocsparseL31bsrmm_large_blockdim_kernel_extILj16ELj16ELj2EiiDF16_DF16_ffEEvb20rocsparse_direction_T3_S2_llNS_24const_host_device_scalarIT7_EEPKT2_PKS2_PKT4_S2_PKT5_llS5_PT6_ll16rocsparse_order_21rocsparse_index_base_b
    .private_segment_fixed_size: 0
    .sgpr_count:     46
    .sgpr_spill_count: 0
    .symbol:         _ZN9rocsparseL31bsrmm_large_blockdim_kernel_extILj16ELj16ELj2EiiDF16_DF16_ffEEvb20rocsparse_direction_T3_S2_llNS_24const_host_device_scalarIT7_EEPKT2_PKS2_PKT4_S2_PKT5_llS5_PT6_ll16rocsparse_order_21rocsparse_index_base_b.kd
    .uniform_work_group_size: 1
    .uses_dynamic_stack: false
    .vgpr_count:     26
    .vgpr_spill_count: 0
    .wavefront_size: 64
  - .agpr_count:     0
    .args:
      - .offset:         0
        .size:           1
        .value_kind:     by_value
      - .offset:         4
        .size:           4
        .value_kind:     by_value
      - .offset:         8
        .size:           4
        .value_kind:     by_value
      - .offset:         12
        .size:           4
        .value_kind:     by_value
      - .offset:         16
        .size:           8
        .value_kind:     by_value
      - .offset:         24
        .size:           8
        .value_kind:     by_value
      - .offset:         32
        .size:           8
        .value_kind:     by_value
      - .actual_access:  read_only
        .address_space:  global
        .offset:         40
        .size:           8
        .value_kind:     global_buffer
      - .actual_access:  read_only
        .address_space:  global
        .offset:         48
        .size:           8
        .value_kind:     global_buffer
      - .actual_access:  read_only
        .address_space:  global
        .offset:         56
        .size:           8
        .value_kind:     global_buffer
      - .offset:         64
        .size:           4
        .value_kind:     by_value
      - .actual_access:  read_only
        .address_space:  global
        .offset:         72
        .size:           8
        .value_kind:     global_buffer
      - .offset:         80
        .size:           8
        .value_kind:     by_value
      - .offset:         88
        .size:           8
        .value_kind:     by_value
      - .offset:         96
        .size:           8
        .value_kind:     by_value
      - .address_space:  global
        .offset:         104
        .size:           8
        .value_kind:     global_buffer
      - .offset:         112
        .size:           8
        .value_kind:     by_value
      - .offset:         120
        .size:           8
        .value_kind:     by_value
      - .offset:         128
        .size:           4
        .value_kind:     by_value
      - .offset:         132
        .size:           4
        .value_kind:     by_value
      - .offset:         136
        .size:           1
        .value_kind:     by_value
    .group_segment_fixed_size: 12288
    .kernarg_segment_align: 8
    .kernarg_segment_size: 140
    .language:       OpenCL C
    .language_version:
      - 2
      - 0
    .max_flat_workgroup_size: 1024
    .name:           _ZN9rocsparseL31bsrmm_large_blockdim_kernel_extILj32ELj32ELj2EiiDF16_DF16_ffEEvb20rocsparse_direction_T3_S2_llNS_24const_host_device_scalarIT7_EEPKT2_PKS2_PKT4_S2_PKT5_llS5_PT6_ll16rocsparse_order_21rocsparse_index_base_b
    .private_segment_fixed_size: 0
    .sgpr_count:     46
    .sgpr_spill_count: 0
    .symbol:         _ZN9rocsparseL31bsrmm_large_blockdim_kernel_extILj32ELj32ELj2EiiDF16_DF16_ffEEvb20rocsparse_direction_T3_S2_llNS_24const_host_device_scalarIT7_EEPKT2_PKS2_PKT4_S2_PKT5_llS5_PT6_ll16rocsparse_order_21rocsparse_index_base_b.kd
    .uniform_work_group_size: 1
    .uses_dynamic_stack: false
    .vgpr_count:     26
    .vgpr_spill_count: 0
    .wavefront_size: 64
  - .agpr_count:     0
    .args:
      - .offset:         0
        .size:           1
        .value_kind:     by_value
      - .offset:         4
        .size:           4
        .value_kind:     by_value
      - .offset:         8
        .size:           4
        .value_kind:     by_value
      - .offset:         12
        .size:           4
        .value_kind:     by_value
      - .offset:         16
        .size:           8
        .value_kind:     by_value
      - .offset:         24
        .size:           8
        .value_kind:     by_value
      - .offset:         32
        .size:           8
        .value_kind:     by_value
      - .actual_access:  read_only
        .address_space:  global
        .offset:         40
        .size:           8
        .value_kind:     global_buffer
      - .actual_access:  read_only
        .address_space:  global
        .offset:         48
        .size:           8
        .value_kind:     global_buffer
      - .actual_access:  read_only
        .address_space:  global
        .offset:         56
        .size:           8
        .value_kind:     global_buffer
      - .offset:         64
        .size:           4
        .value_kind:     by_value
      - .actual_access:  read_only
        .address_space:  global
        .offset:         72
        .size:           8
        .value_kind:     global_buffer
      - .offset:         80
        .size:           8
        .value_kind:     by_value
      - .offset:         88
        .size:           8
        .value_kind:     by_value
      - .offset:         96
        .size:           8
        .value_kind:     by_value
      - .address_space:  global
        .offset:         104
        .size:           8
        .value_kind:     global_buffer
      - .offset:         112
        .size:           8
        .value_kind:     by_value
      - .offset:         120
        .size:           8
        .value_kind:     by_value
      - .offset:         128
        .size:           4
        .value_kind:     by_value
      - .offset:         132
        .size:           4
        .value_kind:     by_value
      - .offset:         136
        .size:           1
        .value_kind:     by_value
    .group_segment_fixed_size: 768
    .kernarg_segment_align: 8
    .kernarg_segment_size: 140
    .language:       OpenCL C
    .language_version:
      - 2
      - 0
    .max_flat_workgroup_size: 64
    .name:           _ZN9rocsparseL31bsrmm_large_blockdim_kernel_extILj8ELj8ELj2EliDF16_DF16_ffEEvb20rocsparse_direction_T3_S2_llNS_24const_host_device_scalarIT7_EEPKT2_PKS2_PKT4_S2_PKT5_llS5_PT6_ll16rocsparse_order_21rocsparse_index_base_b
    .private_segment_fixed_size: 0
    .sgpr_count:     48
    .sgpr_spill_count: 0
    .symbol:         _ZN9rocsparseL31bsrmm_large_blockdim_kernel_extILj8ELj8ELj2EliDF16_DF16_ffEEvb20rocsparse_direction_T3_S2_llNS_24const_host_device_scalarIT7_EEPKT2_PKS2_PKT4_S2_PKT5_llS5_PT6_ll16rocsparse_order_21rocsparse_index_base_b.kd
    .uniform_work_group_size: 1
    .uses_dynamic_stack: false
    .vgpr_count:     26
    .vgpr_spill_count: 0
    .wavefront_size: 64
  - .agpr_count:     0
    .args:
      - .offset:         0
        .size:           1
        .value_kind:     by_value
      - .offset:         4
        .size:           4
        .value_kind:     by_value
      - .offset:         8
        .size:           4
        .value_kind:     by_value
      - .offset:         12
        .size:           4
        .value_kind:     by_value
      - .offset:         16
        .size:           8
        .value_kind:     by_value
      - .offset:         24
        .size:           8
        .value_kind:     by_value
      - .offset:         32
        .size:           8
        .value_kind:     by_value
      - .actual_access:  read_only
        .address_space:  global
        .offset:         40
        .size:           8
        .value_kind:     global_buffer
      - .actual_access:  read_only
        .address_space:  global
        .offset:         48
        .size:           8
        .value_kind:     global_buffer
      - .actual_access:  read_only
        .address_space:  global
        .offset:         56
        .size:           8
        .value_kind:     global_buffer
      - .offset:         64
        .size:           4
        .value_kind:     by_value
      - .actual_access:  read_only
        .address_space:  global
        .offset:         72
        .size:           8
        .value_kind:     global_buffer
      - .offset:         80
        .size:           8
        .value_kind:     by_value
      - .offset:         88
        .size:           8
        .value_kind:     by_value
      - .offset:         96
        .size:           8
        .value_kind:     by_value
      - .address_space:  global
        .offset:         104
        .size:           8
        .value_kind:     global_buffer
      - .offset:         112
        .size:           8
        .value_kind:     by_value
      - .offset:         120
        .size:           8
        .value_kind:     by_value
      - .offset:         128
        .size:           4
        .value_kind:     by_value
      - .offset:         132
        .size:           4
        .value_kind:     by_value
      - .offset:         136
        .size:           1
        .value_kind:     by_value
    .group_segment_fixed_size: 576
    .kernarg_segment_align: 8
    .kernarg_segment_size: 140
    .language:       OpenCL C
    .language_version:
      - 2
      - 0
    .max_flat_workgroup_size: 64
    .name:           _ZN9rocsparseL31bsrmm_large_blockdim_kernel_extILj4ELj16ELj2EliDF16_DF16_ffEEvb20rocsparse_direction_T3_S2_llNS_24const_host_device_scalarIT7_EEPKT2_PKS2_PKT4_S2_PKT5_llS5_PT6_ll16rocsparse_order_21rocsparse_index_base_b
    .private_segment_fixed_size: 0
    .sgpr_count:     48
    .sgpr_spill_count: 0
    .symbol:         _ZN9rocsparseL31bsrmm_large_blockdim_kernel_extILj4ELj16ELj2EliDF16_DF16_ffEEvb20rocsparse_direction_T3_S2_llNS_24const_host_device_scalarIT7_EEPKT2_PKS2_PKT4_S2_PKT5_llS5_PT6_ll16rocsparse_order_21rocsparse_index_base_b.kd
    .uniform_work_group_size: 1
    .uses_dynamic_stack: false
    .vgpr_count:     26
    .vgpr_spill_count: 0
    .wavefront_size: 64
  - .agpr_count:     0
    .args:
      - .offset:         0
        .size:           1
        .value_kind:     by_value
      - .offset:         4
        .size:           4
        .value_kind:     by_value
      - .offset:         8
        .size:           4
        .value_kind:     by_value
      - .offset:         12
        .size:           4
        .value_kind:     by_value
      - .offset:         16
        .size:           8
        .value_kind:     by_value
      - .offset:         24
        .size:           8
        .value_kind:     by_value
      - .offset:         32
        .size:           8
        .value_kind:     by_value
      - .actual_access:  read_only
        .address_space:  global
        .offset:         40
        .size:           8
        .value_kind:     global_buffer
      - .actual_access:  read_only
        .address_space:  global
        .offset:         48
        .size:           8
        .value_kind:     global_buffer
      - .actual_access:  read_only
        .address_space:  global
        .offset:         56
        .size:           8
        .value_kind:     global_buffer
      - .offset:         64
        .size:           4
        .value_kind:     by_value
      - .actual_access:  read_only
        .address_space:  global
        .offset:         72
        .size:           8
        .value_kind:     global_buffer
      - .offset:         80
        .size:           8
        .value_kind:     by_value
      - .offset:         88
        .size:           8
        .value_kind:     by_value
      - .offset:         96
        .size:           8
        .value_kind:     by_value
      - .address_space:  global
        .offset:         104
        .size:           8
        .value_kind:     global_buffer
      - .offset:         112
        .size:           8
        .value_kind:     by_value
      - .offset:         120
        .size:           8
        .value_kind:     by_value
      - .offset:         128
        .size:           4
        .value_kind:     by_value
      - .offset:         132
        .size:           4
        .value_kind:     by_value
      - .offset:         136
        .size:           1
        .value_kind:     by_value
    .group_segment_fixed_size: 3072
    .kernarg_segment_align: 8
    .kernarg_segment_size: 140
    .language:       OpenCL C
    .language_version:
      - 2
      - 0
    .max_flat_workgroup_size: 256
    .name:           _ZN9rocsparseL31bsrmm_large_blockdim_kernel_extILj16ELj16ELj2EliDF16_DF16_ffEEvb20rocsparse_direction_T3_S2_llNS_24const_host_device_scalarIT7_EEPKT2_PKS2_PKT4_S2_PKT5_llS5_PT6_ll16rocsparse_order_21rocsparse_index_base_b
    .private_segment_fixed_size: 0
    .sgpr_count:     48
    .sgpr_spill_count: 0
    .symbol:         _ZN9rocsparseL31bsrmm_large_blockdim_kernel_extILj16ELj16ELj2EliDF16_DF16_ffEEvb20rocsparse_direction_T3_S2_llNS_24const_host_device_scalarIT7_EEPKT2_PKS2_PKT4_S2_PKT5_llS5_PT6_ll16rocsparse_order_21rocsparse_index_base_b.kd
    .uniform_work_group_size: 1
    .uses_dynamic_stack: false
    .vgpr_count:     26
    .vgpr_spill_count: 0
    .wavefront_size: 64
  - .agpr_count:     0
    .args:
      - .offset:         0
        .size:           1
        .value_kind:     by_value
      - .offset:         4
        .size:           4
        .value_kind:     by_value
      - .offset:         8
        .size:           4
        .value_kind:     by_value
      - .offset:         12
        .size:           4
        .value_kind:     by_value
      - .offset:         16
        .size:           8
        .value_kind:     by_value
      - .offset:         24
        .size:           8
        .value_kind:     by_value
      - .offset:         32
        .size:           8
        .value_kind:     by_value
      - .actual_access:  read_only
        .address_space:  global
        .offset:         40
        .size:           8
        .value_kind:     global_buffer
      - .actual_access:  read_only
        .address_space:  global
        .offset:         48
        .size:           8
        .value_kind:     global_buffer
      - .actual_access:  read_only
        .address_space:  global
        .offset:         56
        .size:           8
        .value_kind:     global_buffer
      - .offset:         64
        .size:           4
        .value_kind:     by_value
      - .actual_access:  read_only
        .address_space:  global
        .offset:         72
        .size:           8
        .value_kind:     global_buffer
      - .offset:         80
        .size:           8
        .value_kind:     by_value
      - .offset:         88
        .size:           8
        .value_kind:     by_value
      - .offset:         96
        .size:           8
        .value_kind:     by_value
      - .address_space:  global
        .offset:         104
        .size:           8
        .value_kind:     global_buffer
      - .offset:         112
        .size:           8
        .value_kind:     by_value
      - .offset:         120
        .size:           8
        .value_kind:     by_value
      - .offset:         128
        .size:           4
        .value_kind:     by_value
      - .offset:         132
        .size:           4
        .value_kind:     by_value
      - .offset:         136
        .size:           1
        .value_kind:     by_value
    .group_segment_fixed_size: 12288
    .kernarg_segment_align: 8
    .kernarg_segment_size: 140
    .language:       OpenCL C
    .language_version:
      - 2
      - 0
    .max_flat_workgroup_size: 1024
    .name:           _ZN9rocsparseL31bsrmm_large_blockdim_kernel_extILj32ELj32ELj2EliDF16_DF16_ffEEvb20rocsparse_direction_T3_S2_llNS_24const_host_device_scalarIT7_EEPKT2_PKS2_PKT4_S2_PKT5_llS5_PT6_ll16rocsparse_order_21rocsparse_index_base_b
    .private_segment_fixed_size: 0
    .sgpr_count:     48
    .sgpr_spill_count: 0
    .symbol:         _ZN9rocsparseL31bsrmm_large_blockdim_kernel_extILj32ELj32ELj2EliDF16_DF16_ffEEvb20rocsparse_direction_T3_S2_llNS_24const_host_device_scalarIT7_EEPKT2_PKS2_PKT4_S2_PKT5_llS5_PT6_ll16rocsparse_order_21rocsparse_index_base_b.kd
    .uniform_work_group_size: 1
    .uses_dynamic_stack: false
    .vgpr_count:     28
    .vgpr_spill_count: 0
    .wavefront_size: 64
  - .agpr_count:     0
    .args:
      - .offset:         0
        .size:           1
        .value_kind:     by_value
      - .offset:         4
        .size:           4
        .value_kind:     by_value
      - .offset:         8
        .size:           8
        .value_kind:     by_value
      - .offset:         16
        .size:           8
        .value_kind:     by_value
      - .offset:         24
        .size:           8
        .value_kind:     by_value
      - .offset:         32
        .size:           8
        .value_kind:     by_value
      - .offset:         40
        .size:           8
        .value_kind:     by_value
      - .actual_access:  read_only
        .address_space:  global
        .offset:         48
        .size:           8
        .value_kind:     global_buffer
      - .actual_access:  read_only
        .address_space:  global
        .offset:         56
        .size:           8
        .value_kind:     global_buffer
      - .actual_access:  read_only
        .address_space:  global
        .offset:         64
        .size:           8
        .value_kind:     global_buffer
      - .offset:         72
        .size:           8
        .value_kind:     by_value
      - .actual_access:  read_only
        .address_space:  global
        .offset:         80
        .size:           8
        .value_kind:     global_buffer
      - .offset:         88
        .size:           8
        .value_kind:     by_value
      - .offset:         96
        .size:           8
        .value_kind:     by_value
      - .offset:         104
        .size:           8
        .value_kind:     by_value
      - .address_space:  global
        .offset:         112
        .size:           8
        .value_kind:     global_buffer
      - .offset:         120
        .size:           8
        .value_kind:     by_value
      - .offset:         128
        .size:           8
        .value_kind:     by_value
      - .offset:         136
        .size:           4
        .value_kind:     by_value
      - .offset:         140
        .size:           4
        .value_kind:     by_value
      - .offset:         144
        .size:           1
        .value_kind:     by_value
    .group_segment_fixed_size: 768
    .kernarg_segment_align: 8
    .kernarg_segment_size: 148
    .language:       OpenCL C
    .language_version:
      - 2
      - 0
    .max_flat_workgroup_size: 64
    .name:           _ZN9rocsparseL31bsrmm_large_blockdim_kernel_extILj8ELj8ELj2EllDF16_DF16_ffEEvb20rocsparse_direction_T3_S2_llNS_24const_host_device_scalarIT7_EEPKT2_PKS2_PKT4_S2_PKT5_llS5_PT6_ll16rocsparse_order_21rocsparse_index_base_b
    .private_segment_fixed_size: 0
    .sgpr_count:     56
    .sgpr_spill_count: 0
    .symbol:         _ZN9rocsparseL31bsrmm_large_blockdim_kernel_extILj8ELj8ELj2EllDF16_DF16_ffEEvb20rocsparse_direction_T3_S2_llNS_24const_host_device_scalarIT7_EEPKT2_PKS2_PKT4_S2_PKT5_llS5_PT6_ll16rocsparse_order_21rocsparse_index_base_b.kd
    .uniform_work_group_size: 1
    .uses_dynamic_stack: false
    .vgpr_count:     30
    .vgpr_spill_count: 0
    .wavefront_size: 64
  - .agpr_count:     0
    .args:
      - .offset:         0
        .size:           1
        .value_kind:     by_value
      - .offset:         4
        .size:           4
        .value_kind:     by_value
      - .offset:         8
        .size:           8
        .value_kind:     by_value
      - .offset:         16
        .size:           8
        .value_kind:     by_value
      - .offset:         24
        .size:           8
        .value_kind:     by_value
      - .offset:         32
        .size:           8
        .value_kind:     by_value
      - .offset:         40
        .size:           8
        .value_kind:     by_value
      - .actual_access:  read_only
        .address_space:  global
        .offset:         48
        .size:           8
        .value_kind:     global_buffer
      - .actual_access:  read_only
        .address_space:  global
        .offset:         56
        .size:           8
        .value_kind:     global_buffer
      - .actual_access:  read_only
        .address_space:  global
        .offset:         64
        .size:           8
        .value_kind:     global_buffer
      - .offset:         72
        .size:           8
        .value_kind:     by_value
      - .actual_access:  read_only
        .address_space:  global
        .offset:         80
        .size:           8
        .value_kind:     global_buffer
      - .offset:         88
        .size:           8
        .value_kind:     by_value
      - .offset:         96
        .size:           8
        .value_kind:     by_value
      - .offset:         104
        .size:           8
        .value_kind:     by_value
      - .address_space:  global
        .offset:         112
        .size:           8
        .value_kind:     global_buffer
      - .offset:         120
        .size:           8
        .value_kind:     by_value
      - .offset:         128
        .size:           8
        .value_kind:     by_value
      - .offset:         136
        .size:           4
        .value_kind:     by_value
      - .offset:         140
        .size:           4
        .value_kind:     by_value
      - .offset:         144
        .size:           1
        .value_kind:     by_value
    .group_segment_fixed_size: 576
    .kernarg_segment_align: 8
    .kernarg_segment_size: 148
    .language:       OpenCL C
    .language_version:
      - 2
      - 0
    .max_flat_workgroup_size: 64
    .name:           _ZN9rocsparseL31bsrmm_large_blockdim_kernel_extILj4ELj16ELj2EllDF16_DF16_ffEEvb20rocsparse_direction_T3_S2_llNS_24const_host_device_scalarIT7_EEPKT2_PKS2_PKT4_S2_PKT5_llS5_PT6_ll16rocsparse_order_21rocsparse_index_base_b
    .private_segment_fixed_size: 0
    .sgpr_count:     56
    .sgpr_spill_count: 0
    .symbol:         _ZN9rocsparseL31bsrmm_large_blockdim_kernel_extILj4ELj16ELj2EllDF16_DF16_ffEEvb20rocsparse_direction_T3_S2_llNS_24const_host_device_scalarIT7_EEPKT2_PKS2_PKT4_S2_PKT5_llS5_PT6_ll16rocsparse_order_21rocsparse_index_base_b.kd
    .uniform_work_group_size: 1
    .uses_dynamic_stack: false
    .vgpr_count:     30
    .vgpr_spill_count: 0
    .wavefront_size: 64
  - .agpr_count:     0
    .args:
      - .offset:         0
        .size:           1
        .value_kind:     by_value
      - .offset:         4
        .size:           4
        .value_kind:     by_value
      - .offset:         8
        .size:           8
        .value_kind:     by_value
      - .offset:         16
        .size:           8
        .value_kind:     by_value
      - .offset:         24
        .size:           8
        .value_kind:     by_value
      - .offset:         32
        .size:           8
        .value_kind:     by_value
      - .offset:         40
        .size:           8
        .value_kind:     by_value
      - .actual_access:  read_only
        .address_space:  global
        .offset:         48
        .size:           8
        .value_kind:     global_buffer
      - .actual_access:  read_only
        .address_space:  global
        .offset:         56
        .size:           8
        .value_kind:     global_buffer
      - .actual_access:  read_only
        .address_space:  global
        .offset:         64
        .size:           8
        .value_kind:     global_buffer
      - .offset:         72
        .size:           8
        .value_kind:     by_value
      - .actual_access:  read_only
        .address_space:  global
        .offset:         80
        .size:           8
        .value_kind:     global_buffer
      - .offset:         88
        .size:           8
        .value_kind:     by_value
      - .offset:         96
        .size:           8
        .value_kind:     by_value
      - .offset:         104
        .size:           8
        .value_kind:     by_value
      - .address_space:  global
        .offset:         112
        .size:           8
        .value_kind:     global_buffer
      - .offset:         120
        .size:           8
        .value_kind:     by_value
      - .offset:         128
        .size:           8
        .value_kind:     by_value
      - .offset:         136
        .size:           4
        .value_kind:     by_value
      - .offset:         140
        .size:           4
        .value_kind:     by_value
      - .offset:         144
        .size:           1
        .value_kind:     by_value
    .group_segment_fixed_size: 3072
    .kernarg_segment_align: 8
    .kernarg_segment_size: 148
    .language:       OpenCL C
    .language_version:
      - 2
      - 0
    .max_flat_workgroup_size: 256
    .name:           _ZN9rocsparseL31bsrmm_large_blockdim_kernel_extILj16ELj16ELj2EllDF16_DF16_ffEEvb20rocsparse_direction_T3_S2_llNS_24const_host_device_scalarIT7_EEPKT2_PKS2_PKT4_S2_PKT5_llS5_PT6_ll16rocsparse_order_21rocsparse_index_base_b
    .private_segment_fixed_size: 0
    .sgpr_count:     56
    .sgpr_spill_count: 0
    .symbol:         _ZN9rocsparseL31bsrmm_large_blockdim_kernel_extILj16ELj16ELj2EllDF16_DF16_ffEEvb20rocsparse_direction_T3_S2_llNS_24const_host_device_scalarIT7_EEPKT2_PKS2_PKT4_S2_PKT5_llS5_PT6_ll16rocsparse_order_21rocsparse_index_base_b.kd
    .uniform_work_group_size: 1
    .uses_dynamic_stack: false
    .vgpr_count:     30
    .vgpr_spill_count: 0
    .wavefront_size: 64
  - .agpr_count:     0
    .args:
      - .offset:         0
        .size:           1
        .value_kind:     by_value
      - .offset:         4
        .size:           4
        .value_kind:     by_value
      - .offset:         8
        .size:           8
        .value_kind:     by_value
      - .offset:         16
        .size:           8
        .value_kind:     by_value
      - .offset:         24
        .size:           8
        .value_kind:     by_value
      - .offset:         32
        .size:           8
        .value_kind:     by_value
      - .offset:         40
        .size:           8
        .value_kind:     by_value
      - .actual_access:  read_only
        .address_space:  global
        .offset:         48
        .size:           8
        .value_kind:     global_buffer
      - .actual_access:  read_only
        .address_space:  global
        .offset:         56
        .size:           8
        .value_kind:     global_buffer
      - .actual_access:  read_only
        .address_space:  global
        .offset:         64
        .size:           8
        .value_kind:     global_buffer
      - .offset:         72
        .size:           8
        .value_kind:     by_value
      - .actual_access:  read_only
        .address_space:  global
        .offset:         80
        .size:           8
        .value_kind:     global_buffer
      - .offset:         88
        .size:           8
        .value_kind:     by_value
      - .offset:         96
        .size:           8
        .value_kind:     by_value
      - .offset:         104
        .size:           8
        .value_kind:     by_value
      - .address_space:  global
        .offset:         112
        .size:           8
        .value_kind:     global_buffer
      - .offset:         120
        .size:           8
        .value_kind:     by_value
      - .offset:         128
        .size:           8
        .value_kind:     by_value
      - .offset:         136
        .size:           4
        .value_kind:     by_value
      - .offset:         140
        .size:           4
        .value_kind:     by_value
      - .offset:         144
        .size:           1
        .value_kind:     by_value
    .group_segment_fixed_size: 12288
    .kernarg_segment_align: 8
    .kernarg_segment_size: 148
    .language:       OpenCL C
    .language_version:
      - 2
      - 0
    .max_flat_workgroup_size: 1024
    .name:           _ZN9rocsparseL31bsrmm_large_blockdim_kernel_extILj32ELj32ELj2EllDF16_DF16_ffEEvb20rocsparse_direction_T3_S2_llNS_24const_host_device_scalarIT7_EEPKT2_PKS2_PKT4_S2_PKT5_llS5_PT6_ll16rocsparse_order_21rocsparse_index_base_b
    .private_segment_fixed_size: 0
    .sgpr_count:     54
    .sgpr_spill_count: 0
    .symbol:         _ZN9rocsparseL31bsrmm_large_blockdim_kernel_extILj32ELj32ELj2EllDF16_DF16_ffEEvb20rocsparse_direction_T3_S2_llNS_24const_host_device_scalarIT7_EEPKT2_PKS2_PKT4_S2_PKT5_llS5_PT6_ll16rocsparse_order_21rocsparse_index_base_b.kd
    .uniform_work_group_size: 1
    .uses_dynamic_stack: false
    .vgpr_count:     32
    .vgpr_spill_count: 0
    .wavefront_size: 64
  - .agpr_count:     0
    .args:
      - .offset:         0
        .size:           1
        .value_kind:     by_value
      - .offset:         4
        .size:           4
        .value_kind:     by_value
      - .offset:         8
        .size:           4
        .value_kind:     by_value
      - .offset:         12
        .size:           4
        .value_kind:     by_value
      - .offset:         16
        .size:           8
        .value_kind:     by_value
      - .offset:         24
        .size:           8
        .value_kind:     by_value
      - .offset:         32
        .size:           8
        .value_kind:     by_value
      - .actual_access:  read_only
        .address_space:  global
        .offset:         40
        .size:           8
        .value_kind:     global_buffer
      - .actual_access:  read_only
        .address_space:  global
        .offset:         48
        .size:           8
        .value_kind:     global_buffer
      - .actual_access:  read_only
        .address_space:  global
        .offset:         56
        .size:           8
        .value_kind:     global_buffer
      - .offset:         64
        .size:           4
        .value_kind:     by_value
      - .actual_access:  read_only
        .address_space:  global
        .offset:         72
        .size:           8
        .value_kind:     global_buffer
      - .offset:         80
        .size:           8
        .value_kind:     by_value
      - .offset:         88
        .size:           8
        .value_kind:     by_value
      - .offset:         96
        .size:           8
        .value_kind:     by_value
      - .address_space:  global
        .offset:         104
        .size:           8
        .value_kind:     global_buffer
      - .offset:         112
        .size:           8
        .value_kind:     by_value
      - .offset:         120
        .size:           8
        .value_kind:     by_value
      - .offset:         128
        .size:           4
        .value_kind:     by_value
      - .offset:         132
        .size:           4
        .value_kind:     by_value
      - .offset:         136
        .size:           1
        .value_kind:     by_value
    .group_segment_fixed_size: 768
    .kernarg_segment_align: 8
    .kernarg_segment_size: 140
    .language:       OpenCL C
    .language_version:
      - 2
      - 0
    .max_flat_workgroup_size: 64
    .name:           _ZN9rocsparseL31bsrmm_large_blockdim_kernel_extILj8ELj8ELj2EiiaaiiEEvb20rocsparse_direction_T3_S2_llNS_24const_host_device_scalarIT7_EEPKT2_PKS2_PKT4_S2_PKT5_llS5_PT6_ll16rocsparse_order_21rocsparse_index_base_b
    .private_segment_fixed_size: 0
    .sgpr_count:     46
    .sgpr_spill_count: 0
    .symbol:         _ZN9rocsparseL31bsrmm_large_blockdim_kernel_extILj8ELj8ELj2EiiaaiiEEvb20rocsparse_direction_T3_S2_llNS_24const_host_device_scalarIT7_EEPKT2_PKS2_PKT4_S2_PKT5_llS5_PT6_ll16rocsparse_order_21rocsparse_index_base_b.kd
    .uniform_work_group_size: 1
    .uses_dynamic_stack: false
    .vgpr_count:     26
    .vgpr_spill_count: 0
    .wavefront_size: 64
  - .agpr_count:     0
    .args:
      - .offset:         0
        .size:           1
        .value_kind:     by_value
      - .offset:         4
        .size:           4
        .value_kind:     by_value
      - .offset:         8
        .size:           4
        .value_kind:     by_value
      - .offset:         12
        .size:           4
        .value_kind:     by_value
      - .offset:         16
        .size:           8
        .value_kind:     by_value
      - .offset:         24
        .size:           8
        .value_kind:     by_value
      - .offset:         32
        .size:           8
        .value_kind:     by_value
      - .actual_access:  read_only
        .address_space:  global
        .offset:         40
        .size:           8
        .value_kind:     global_buffer
      - .actual_access:  read_only
        .address_space:  global
        .offset:         48
        .size:           8
        .value_kind:     global_buffer
      - .actual_access:  read_only
        .address_space:  global
        .offset:         56
        .size:           8
        .value_kind:     global_buffer
      - .offset:         64
        .size:           4
        .value_kind:     by_value
      - .actual_access:  read_only
        .address_space:  global
        .offset:         72
        .size:           8
        .value_kind:     global_buffer
      - .offset:         80
        .size:           8
        .value_kind:     by_value
      - .offset:         88
        .size:           8
        .value_kind:     by_value
      - .offset:         96
        .size:           8
        .value_kind:     by_value
      - .address_space:  global
        .offset:         104
        .size:           8
        .value_kind:     global_buffer
      - .offset:         112
        .size:           8
        .value_kind:     by_value
      - .offset:         120
        .size:           8
        .value_kind:     by_value
      - .offset:         128
        .size:           4
        .value_kind:     by_value
      - .offset:         132
        .size:           4
        .value_kind:     by_value
      - .offset:         136
        .size:           1
        .value_kind:     by_value
    .group_segment_fixed_size: 576
    .kernarg_segment_align: 8
    .kernarg_segment_size: 140
    .language:       OpenCL C
    .language_version:
      - 2
      - 0
    .max_flat_workgroup_size: 64
    .name:           _ZN9rocsparseL31bsrmm_large_blockdim_kernel_extILj4ELj16ELj2EiiaaiiEEvb20rocsparse_direction_T3_S2_llNS_24const_host_device_scalarIT7_EEPKT2_PKS2_PKT4_S2_PKT5_llS5_PT6_ll16rocsparse_order_21rocsparse_index_base_b
    .private_segment_fixed_size: 0
    .sgpr_count:     46
    .sgpr_spill_count: 0
    .symbol:         _ZN9rocsparseL31bsrmm_large_blockdim_kernel_extILj4ELj16ELj2EiiaaiiEEvb20rocsparse_direction_T3_S2_llNS_24const_host_device_scalarIT7_EEPKT2_PKS2_PKT4_S2_PKT5_llS5_PT6_ll16rocsparse_order_21rocsparse_index_base_b.kd
    .uniform_work_group_size: 1
    .uses_dynamic_stack: false
    .vgpr_count:     26
    .vgpr_spill_count: 0
    .wavefront_size: 64
  - .agpr_count:     0
    .args:
      - .offset:         0
        .size:           1
        .value_kind:     by_value
      - .offset:         4
        .size:           4
        .value_kind:     by_value
      - .offset:         8
        .size:           4
        .value_kind:     by_value
      - .offset:         12
        .size:           4
        .value_kind:     by_value
      - .offset:         16
        .size:           8
        .value_kind:     by_value
      - .offset:         24
        .size:           8
        .value_kind:     by_value
      - .offset:         32
        .size:           8
        .value_kind:     by_value
      - .actual_access:  read_only
        .address_space:  global
        .offset:         40
        .size:           8
        .value_kind:     global_buffer
      - .actual_access:  read_only
        .address_space:  global
        .offset:         48
        .size:           8
        .value_kind:     global_buffer
      - .actual_access:  read_only
        .address_space:  global
        .offset:         56
        .size:           8
        .value_kind:     global_buffer
      - .offset:         64
        .size:           4
        .value_kind:     by_value
      - .actual_access:  read_only
        .address_space:  global
        .offset:         72
        .size:           8
        .value_kind:     global_buffer
      - .offset:         80
        .size:           8
        .value_kind:     by_value
      - .offset:         88
        .size:           8
        .value_kind:     by_value
      - .offset:         96
        .size:           8
        .value_kind:     by_value
      - .address_space:  global
        .offset:         104
        .size:           8
        .value_kind:     global_buffer
      - .offset:         112
        .size:           8
        .value_kind:     by_value
      - .offset:         120
        .size:           8
        .value_kind:     by_value
      - .offset:         128
        .size:           4
        .value_kind:     by_value
      - .offset:         132
        .size:           4
        .value_kind:     by_value
      - .offset:         136
        .size:           1
        .value_kind:     by_value
    .group_segment_fixed_size: 3072
    .kernarg_segment_align: 8
    .kernarg_segment_size: 140
    .language:       OpenCL C
    .language_version:
      - 2
      - 0
    .max_flat_workgroup_size: 256
    .name:           _ZN9rocsparseL31bsrmm_large_blockdim_kernel_extILj16ELj16ELj2EiiaaiiEEvb20rocsparse_direction_T3_S2_llNS_24const_host_device_scalarIT7_EEPKT2_PKS2_PKT4_S2_PKT5_llS5_PT6_ll16rocsparse_order_21rocsparse_index_base_b
    .private_segment_fixed_size: 0
    .sgpr_count:     46
    .sgpr_spill_count: 0
    .symbol:         _ZN9rocsparseL31bsrmm_large_blockdim_kernel_extILj16ELj16ELj2EiiaaiiEEvb20rocsparse_direction_T3_S2_llNS_24const_host_device_scalarIT7_EEPKT2_PKS2_PKT4_S2_PKT5_llS5_PT6_ll16rocsparse_order_21rocsparse_index_base_b.kd
    .uniform_work_group_size: 1
    .uses_dynamic_stack: false
    .vgpr_count:     26
    .vgpr_spill_count: 0
    .wavefront_size: 64
  - .agpr_count:     0
    .args:
      - .offset:         0
        .size:           1
        .value_kind:     by_value
      - .offset:         4
        .size:           4
        .value_kind:     by_value
      - .offset:         8
        .size:           4
        .value_kind:     by_value
      - .offset:         12
        .size:           4
        .value_kind:     by_value
      - .offset:         16
        .size:           8
        .value_kind:     by_value
      - .offset:         24
        .size:           8
        .value_kind:     by_value
      - .offset:         32
        .size:           8
        .value_kind:     by_value
      - .actual_access:  read_only
        .address_space:  global
        .offset:         40
        .size:           8
        .value_kind:     global_buffer
      - .actual_access:  read_only
        .address_space:  global
        .offset:         48
        .size:           8
        .value_kind:     global_buffer
      - .actual_access:  read_only
        .address_space:  global
        .offset:         56
        .size:           8
        .value_kind:     global_buffer
      - .offset:         64
        .size:           4
        .value_kind:     by_value
      - .actual_access:  read_only
        .address_space:  global
        .offset:         72
        .size:           8
        .value_kind:     global_buffer
      - .offset:         80
        .size:           8
        .value_kind:     by_value
      - .offset:         88
        .size:           8
        .value_kind:     by_value
      - .offset:         96
        .size:           8
        .value_kind:     by_value
      - .address_space:  global
        .offset:         104
        .size:           8
        .value_kind:     global_buffer
      - .offset:         112
        .size:           8
        .value_kind:     by_value
      - .offset:         120
        .size:           8
        .value_kind:     by_value
      - .offset:         128
        .size:           4
        .value_kind:     by_value
      - .offset:         132
        .size:           4
        .value_kind:     by_value
      - .offset:         136
        .size:           1
        .value_kind:     by_value
    .group_segment_fixed_size: 12288
    .kernarg_segment_align: 8
    .kernarg_segment_size: 140
    .language:       OpenCL C
    .language_version:
      - 2
      - 0
    .max_flat_workgroup_size: 1024
    .name:           _ZN9rocsparseL31bsrmm_large_blockdim_kernel_extILj32ELj32ELj2EiiaaiiEEvb20rocsparse_direction_T3_S2_llNS_24const_host_device_scalarIT7_EEPKT2_PKS2_PKT4_S2_PKT5_llS5_PT6_ll16rocsparse_order_21rocsparse_index_base_b
    .private_segment_fixed_size: 0
    .sgpr_count:     46
    .sgpr_spill_count: 0
    .symbol:         _ZN9rocsparseL31bsrmm_large_blockdim_kernel_extILj32ELj32ELj2EiiaaiiEEvb20rocsparse_direction_T3_S2_llNS_24const_host_device_scalarIT7_EEPKT2_PKS2_PKT4_S2_PKT5_llS5_PT6_ll16rocsparse_order_21rocsparse_index_base_b.kd
    .uniform_work_group_size: 1
    .uses_dynamic_stack: false
    .vgpr_count:     26
    .vgpr_spill_count: 0
    .wavefront_size: 64
  - .agpr_count:     0
    .args:
      - .offset:         0
        .size:           1
        .value_kind:     by_value
      - .offset:         4
        .size:           4
        .value_kind:     by_value
      - .offset:         8
        .size:           4
        .value_kind:     by_value
      - .offset:         12
        .size:           4
        .value_kind:     by_value
      - .offset:         16
        .size:           8
        .value_kind:     by_value
      - .offset:         24
        .size:           8
        .value_kind:     by_value
      - .offset:         32
        .size:           8
        .value_kind:     by_value
      - .actual_access:  read_only
        .address_space:  global
        .offset:         40
        .size:           8
        .value_kind:     global_buffer
      - .actual_access:  read_only
        .address_space:  global
        .offset:         48
        .size:           8
        .value_kind:     global_buffer
      - .actual_access:  read_only
        .address_space:  global
        .offset:         56
        .size:           8
        .value_kind:     global_buffer
      - .offset:         64
        .size:           4
        .value_kind:     by_value
      - .actual_access:  read_only
        .address_space:  global
        .offset:         72
        .size:           8
        .value_kind:     global_buffer
      - .offset:         80
        .size:           8
        .value_kind:     by_value
      - .offset:         88
        .size:           8
        .value_kind:     by_value
      - .offset:         96
        .size:           8
        .value_kind:     by_value
      - .address_space:  global
        .offset:         104
        .size:           8
        .value_kind:     global_buffer
      - .offset:         112
        .size:           8
        .value_kind:     by_value
      - .offset:         120
        .size:           8
        .value_kind:     by_value
      - .offset:         128
        .size:           4
        .value_kind:     by_value
      - .offset:         132
        .size:           4
        .value_kind:     by_value
      - .offset:         136
        .size:           1
        .value_kind:     by_value
    .group_segment_fixed_size: 768
    .kernarg_segment_align: 8
    .kernarg_segment_size: 140
    .language:       OpenCL C
    .language_version:
      - 2
      - 0
    .max_flat_workgroup_size: 64
    .name:           _ZN9rocsparseL31bsrmm_large_blockdim_kernel_extILj8ELj8ELj2EliaaiiEEvb20rocsparse_direction_T3_S2_llNS_24const_host_device_scalarIT7_EEPKT2_PKS2_PKT4_S2_PKT5_llS5_PT6_ll16rocsparse_order_21rocsparse_index_base_b
    .private_segment_fixed_size: 0
    .sgpr_count:     48
    .sgpr_spill_count: 0
    .symbol:         _ZN9rocsparseL31bsrmm_large_blockdim_kernel_extILj8ELj8ELj2EliaaiiEEvb20rocsparse_direction_T3_S2_llNS_24const_host_device_scalarIT7_EEPKT2_PKS2_PKT4_S2_PKT5_llS5_PT6_ll16rocsparse_order_21rocsparse_index_base_b.kd
    .uniform_work_group_size: 1
    .uses_dynamic_stack: false
    .vgpr_count:     26
    .vgpr_spill_count: 0
    .wavefront_size: 64
  - .agpr_count:     0
    .args:
      - .offset:         0
        .size:           1
        .value_kind:     by_value
      - .offset:         4
        .size:           4
        .value_kind:     by_value
      - .offset:         8
        .size:           4
        .value_kind:     by_value
      - .offset:         12
        .size:           4
        .value_kind:     by_value
      - .offset:         16
        .size:           8
        .value_kind:     by_value
      - .offset:         24
        .size:           8
        .value_kind:     by_value
      - .offset:         32
        .size:           8
        .value_kind:     by_value
      - .actual_access:  read_only
        .address_space:  global
        .offset:         40
        .size:           8
        .value_kind:     global_buffer
      - .actual_access:  read_only
        .address_space:  global
        .offset:         48
        .size:           8
        .value_kind:     global_buffer
      - .actual_access:  read_only
        .address_space:  global
        .offset:         56
        .size:           8
        .value_kind:     global_buffer
      - .offset:         64
        .size:           4
        .value_kind:     by_value
      - .actual_access:  read_only
        .address_space:  global
        .offset:         72
        .size:           8
        .value_kind:     global_buffer
      - .offset:         80
        .size:           8
        .value_kind:     by_value
      - .offset:         88
        .size:           8
        .value_kind:     by_value
      - .offset:         96
        .size:           8
        .value_kind:     by_value
      - .address_space:  global
        .offset:         104
        .size:           8
        .value_kind:     global_buffer
      - .offset:         112
        .size:           8
        .value_kind:     by_value
      - .offset:         120
        .size:           8
        .value_kind:     by_value
      - .offset:         128
        .size:           4
        .value_kind:     by_value
      - .offset:         132
        .size:           4
        .value_kind:     by_value
      - .offset:         136
        .size:           1
        .value_kind:     by_value
    .group_segment_fixed_size: 576
    .kernarg_segment_align: 8
    .kernarg_segment_size: 140
    .language:       OpenCL C
    .language_version:
      - 2
      - 0
    .max_flat_workgroup_size: 64
    .name:           _ZN9rocsparseL31bsrmm_large_blockdim_kernel_extILj4ELj16ELj2EliaaiiEEvb20rocsparse_direction_T3_S2_llNS_24const_host_device_scalarIT7_EEPKT2_PKS2_PKT4_S2_PKT5_llS5_PT6_ll16rocsparse_order_21rocsparse_index_base_b
    .private_segment_fixed_size: 0
    .sgpr_count:     48
    .sgpr_spill_count: 0
    .symbol:         _ZN9rocsparseL31bsrmm_large_blockdim_kernel_extILj4ELj16ELj2EliaaiiEEvb20rocsparse_direction_T3_S2_llNS_24const_host_device_scalarIT7_EEPKT2_PKS2_PKT4_S2_PKT5_llS5_PT6_ll16rocsparse_order_21rocsparse_index_base_b.kd
    .uniform_work_group_size: 1
    .uses_dynamic_stack: false
    .vgpr_count:     26
    .vgpr_spill_count: 0
    .wavefront_size: 64
  - .agpr_count:     0
    .args:
      - .offset:         0
        .size:           1
        .value_kind:     by_value
      - .offset:         4
        .size:           4
        .value_kind:     by_value
      - .offset:         8
        .size:           4
        .value_kind:     by_value
      - .offset:         12
        .size:           4
        .value_kind:     by_value
      - .offset:         16
        .size:           8
        .value_kind:     by_value
      - .offset:         24
        .size:           8
        .value_kind:     by_value
      - .offset:         32
        .size:           8
        .value_kind:     by_value
      - .actual_access:  read_only
        .address_space:  global
        .offset:         40
        .size:           8
        .value_kind:     global_buffer
      - .actual_access:  read_only
        .address_space:  global
        .offset:         48
        .size:           8
        .value_kind:     global_buffer
      - .actual_access:  read_only
        .address_space:  global
        .offset:         56
        .size:           8
        .value_kind:     global_buffer
      - .offset:         64
        .size:           4
        .value_kind:     by_value
      - .actual_access:  read_only
        .address_space:  global
        .offset:         72
        .size:           8
        .value_kind:     global_buffer
      - .offset:         80
        .size:           8
        .value_kind:     by_value
      - .offset:         88
        .size:           8
        .value_kind:     by_value
      - .offset:         96
        .size:           8
        .value_kind:     by_value
      - .address_space:  global
        .offset:         104
        .size:           8
        .value_kind:     global_buffer
      - .offset:         112
        .size:           8
        .value_kind:     by_value
      - .offset:         120
        .size:           8
        .value_kind:     by_value
      - .offset:         128
        .size:           4
        .value_kind:     by_value
      - .offset:         132
        .size:           4
        .value_kind:     by_value
      - .offset:         136
        .size:           1
        .value_kind:     by_value
    .group_segment_fixed_size: 3072
    .kernarg_segment_align: 8
    .kernarg_segment_size: 140
    .language:       OpenCL C
    .language_version:
      - 2
      - 0
    .max_flat_workgroup_size: 256
    .name:           _ZN9rocsparseL31bsrmm_large_blockdim_kernel_extILj16ELj16ELj2EliaaiiEEvb20rocsparse_direction_T3_S2_llNS_24const_host_device_scalarIT7_EEPKT2_PKS2_PKT4_S2_PKT5_llS5_PT6_ll16rocsparse_order_21rocsparse_index_base_b
    .private_segment_fixed_size: 0
    .sgpr_count:     48
    .sgpr_spill_count: 0
    .symbol:         _ZN9rocsparseL31bsrmm_large_blockdim_kernel_extILj16ELj16ELj2EliaaiiEEvb20rocsparse_direction_T3_S2_llNS_24const_host_device_scalarIT7_EEPKT2_PKS2_PKT4_S2_PKT5_llS5_PT6_ll16rocsparse_order_21rocsparse_index_base_b.kd
    .uniform_work_group_size: 1
    .uses_dynamic_stack: false
    .vgpr_count:     26
    .vgpr_spill_count: 0
    .wavefront_size: 64
  - .agpr_count:     0
    .args:
      - .offset:         0
        .size:           1
        .value_kind:     by_value
      - .offset:         4
        .size:           4
        .value_kind:     by_value
      - .offset:         8
        .size:           4
        .value_kind:     by_value
      - .offset:         12
        .size:           4
        .value_kind:     by_value
      - .offset:         16
        .size:           8
        .value_kind:     by_value
      - .offset:         24
        .size:           8
        .value_kind:     by_value
      - .offset:         32
        .size:           8
        .value_kind:     by_value
      - .actual_access:  read_only
        .address_space:  global
        .offset:         40
        .size:           8
        .value_kind:     global_buffer
      - .actual_access:  read_only
        .address_space:  global
        .offset:         48
        .size:           8
        .value_kind:     global_buffer
      - .actual_access:  read_only
        .address_space:  global
        .offset:         56
        .size:           8
        .value_kind:     global_buffer
      - .offset:         64
        .size:           4
        .value_kind:     by_value
      - .actual_access:  read_only
        .address_space:  global
        .offset:         72
        .size:           8
        .value_kind:     global_buffer
      - .offset:         80
        .size:           8
        .value_kind:     by_value
      - .offset:         88
        .size:           8
        .value_kind:     by_value
      - .offset:         96
        .size:           8
        .value_kind:     by_value
      - .address_space:  global
        .offset:         104
        .size:           8
        .value_kind:     global_buffer
      - .offset:         112
        .size:           8
        .value_kind:     by_value
      - .offset:         120
        .size:           8
        .value_kind:     by_value
      - .offset:         128
        .size:           4
        .value_kind:     by_value
      - .offset:         132
        .size:           4
        .value_kind:     by_value
      - .offset:         136
        .size:           1
        .value_kind:     by_value
    .group_segment_fixed_size: 12288
    .kernarg_segment_align: 8
    .kernarg_segment_size: 140
    .language:       OpenCL C
    .language_version:
      - 2
      - 0
    .max_flat_workgroup_size: 1024
    .name:           _ZN9rocsparseL31bsrmm_large_blockdim_kernel_extILj32ELj32ELj2EliaaiiEEvb20rocsparse_direction_T3_S2_llNS_24const_host_device_scalarIT7_EEPKT2_PKS2_PKT4_S2_PKT5_llS5_PT6_ll16rocsparse_order_21rocsparse_index_base_b
    .private_segment_fixed_size: 0
    .sgpr_count:     48
    .sgpr_spill_count: 0
    .symbol:         _ZN9rocsparseL31bsrmm_large_blockdim_kernel_extILj32ELj32ELj2EliaaiiEEvb20rocsparse_direction_T3_S2_llNS_24const_host_device_scalarIT7_EEPKT2_PKS2_PKT4_S2_PKT5_llS5_PT6_ll16rocsparse_order_21rocsparse_index_base_b.kd
    .uniform_work_group_size: 1
    .uses_dynamic_stack: false
    .vgpr_count:     28
    .vgpr_spill_count: 0
    .wavefront_size: 64
  - .agpr_count:     0
    .args:
      - .offset:         0
        .size:           1
        .value_kind:     by_value
      - .offset:         4
        .size:           4
        .value_kind:     by_value
      - .offset:         8
        .size:           8
        .value_kind:     by_value
      - .offset:         16
        .size:           8
        .value_kind:     by_value
      - .offset:         24
        .size:           8
        .value_kind:     by_value
      - .offset:         32
        .size:           8
        .value_kind:     by_value
      - .offset:         40
        .size:           8
        .value_kind:     by_value
      - .actual_access:  read_only
        .address_space:  global
        .offset:         48
        .size:           8
        .value_kind:     global_buffer
      - .actual_access:  read_only
        .address_space:  global
        .offset:         56
        .size:           8
        .value_kind:     global_buffer
      - .actual_access:  read_only
        .address_space:  global
        .offset:         64
        .size:           8
        .value_kind:     global_buffer
      - .offset:         72
        .size:           8
        .value_kind:     by_value
      - .actual_access:  read_only
        .address_space:  global
        .offset:         80
        .size:           8
        .value_kind:     global_buffer
      - .offset:         88
        .size:           8
        .value_kind:     by_value
      - .offset:         96
        .size:           8
        .value_kind:     by_value
      - .offset:         104
        .size:           8
        .value_kind:     by_value
      - .address_space:  global
        .offset:         112
        .size:           8
        .value_kind:     global_buffer
      - .offset:         120
        .size:           8
        .value_kind:     by_value
      - .offset:         128
        .size:           8
        .value_kind:     by_value
      - .offset:         136
        .size:           4
        .value_kind:     by_value
      - .offset:         140
        .size:           4
        .value_kind:     by_value
      - .offset:         144
        .size:           1
        .value_kind:     by_value
    .group_segment_fixed_size: 768
    .kernarg_segment_align: 8
    .kernarg_segment_size: 148
    .language:       OpenCL C
    .language_version:
      - 2
      - 0
    .max_flat_workgroup_size: 64
    .name:           _ZN9rocsparseL31bsrmm_large_blockdim_kernel_extILj8ELj8ELj2EllaaiiEEvb20rocsparse_direction_T3_S2_llNS_24const_host_device_scalarIT7_EEPKT2_PKS2_PKT4_S2_PKT5_llS5_PT6_ll16rocsparse_order_21rocsparse_index_base_b
    .private_segment_fixed_size: 0
    .sgpr_count:     56
    .sgpr_spill_count: 0
    .symbol:         _ZN9rocsparseL31bsrmm_large_blockdim_kernel_extILj8ELj8ELj2EllaaiiEEvb20rocsparse_direction_T3_S2_llNS_24const_host_device_scalarIT7_EEPKT2_PKS2_PKT4_S2_PKT5_llS5_PT6_ll16rocsparse_order_21rocsparse_index_base_b.kd
    .uniform_work_group_size: 1
    .uses_dynamic_stack: false
    .vgpr_count:     30
    .vgpr_spill_count: 0
    .wavefront_size: 64
  - .agpr_count:     0
    .args:
      - .offset:         0
        .size:           1
        .value_kind:     by_value
      - .offset:         4
        .size:           4
        .value_kind:     by_value
      - .offset:         8
        .size:           8
        .value_kind:     by_value
      - .offset:         16
        .size:           8
        .value_kind:     by_value
      - .offset:         24
        .size:           8
        .value_kind:     by_value
      - .offset:         32
        .size:           8
        .value_kind:     by_value
      - .offset:         40
        .size:           8
        .value_kind:     by_value
      - .actual_access:  read_only
        .address_space:  global
        .offset:         48
        .size:           8
        .value_kind:     global_buffer
      - .actual_access:  read_only
        .address_space:  global
        .offset:         56
        .size:           8
        .value_kind:     global_buffer
      - .actual_access:  read_only
        .address_space:  global
        .offset:         64
        .size:           8
        .value_kind:     global_buffer
      - .offset:         72
        .size:           8
        .value_kind:     by_value
      - .actual_access:  read_only
        .address_space:  global
        .offset:         80
        .size:           8
        .value_kind:     global_buffer
      - .offset:         88
        .size:           8
        .value_kind:     by_value
      - .offset:         96
        .size:           8
        .value_kind:     by_value
      - .offset:         104
        .size:           8
        .value_kind:     by_value
      - .address_space:  global
        .offset:         112
        .size:           8
        .value_kind:     global_buffer
      - .offset:         120
        .size:           8
        .value_kind:     by_value
      - .offset:         128
        .size:           8
        .value_kind:     by_value
      - .offset:         136
        .size:           4
        .value_kind:     by_value
      - .offset:         140
        .size:           4
        .value_kind:     by_value
      - .offset:         144
        .size:           1
        .value_kind:     by_value
    .group_segment_fixed_size: 576
    .kernarg_segment_align: 8
    .kernarg_segment_size: 148
    .language:       OpenCL C
    .language_version:
      - 2
      - 0
    .max_flat_workgroup_size: 64
    .name:           _ZN9rocsparseL31bsrmm_large_blockdim_kernel_extILj4ELj16ELj2EllaaiiEEvb20rocsparse_direction_T3_S2_llNS_24const_host_device_scalarIT7_EEPKT2_PKS2_PKT4_S2_PKT5_llS5_PT6_ll16rocsparse_order_21rocsparse_index_base_b
    .private_segment_fixed_size: 0
    .sgpr_count:     56
    .sgpr_spill_count: 0
    .symbol:         _ZN9rocsparseL31bsrmm_large_blockdim_kernel_extILj4ELj16ELj2EllaaiiEEvb20rocsparse_direction_T3_S2_llNS_24const_host_device_scalarIT7_EEPKT2_PKS2_PKT4_S2_PKT5_llS5_PT6_ll16rocsparse_order_21rocsparse_index_base_b.kd
    .uniform_work_group_size: 1
    .uses_dynamic_stack: false
    .vgpr_count:     30
    .vgpr_spill_count: 0
    .wavefront_size: 64
  - .agpr_count:     0
    .args:
      - .offset:         0
        .size:           1
        .value_kind:     by_value
      - .offset:         4
        .size:           4
        .value_kind:     by_value
      - .offset:         8
        .size:           8
        .value_kind:     by_value
      - .offset:         16
        .size:           8
        .value_kind:     by_value
      - .offset:         24
        .size:           8
        .value_kind:     by_value
      - .offset:         32
        .size:           8
        .value_kind:     by_value
      - .offset:         40
        .size:           8
        .value_kind:     by_value
      - .actual_access:  read_only
        .address_space:  global
        .offset:         48
        .size:           8
        .value_kind:     global_buffer
      - .actual_access:  read_only
        .address_space:  global
        .offset:         56
        .size:           8
        .value_kind:     global_buffer
      - .actual_access:  read_only
        .address_space:  global
        .offset:         64
        .size:           8
        .value_kind:     global_buffer
      - .offset:         72
        .size:           8
        .value_kind:     by_value
      - .actual_access:  read_only
        .address_space:  global
        .offset:         80
        .size:           8
        .value_kind:     global_buffer
      - .offset:         88
        .size:           8
        .value_kind:     by_value
      - .offset:         96
        .size:           8
        .value_kind:     by_value
      - .offset:         104
        .size:           8
        .value_kind:     by_value
      - .address_space:  global
        .offset:         112
        .size:           8
        .value_kind:     global_buffer
      - .offset:         120
        .size:           8
        .value_kind:     by_value
      - .offset:         128
        .size:           8
        .value_kind:     by_value
      - .offset:         136
        .size:           4
        .value_kind:     by_value
      - .offset:         140
        .size:           4
        .value_kind:     by_value
      - .offset:         144
        .size:           1
        .value_kind:     by_value
    .group_segment_fixed_size: 3072
    .kernarg_segment_align: 8
    .kernarg_segment_size: 148
    .language:       OpenCL C
    .language_version:
      - 2
      - 0
    .max_flat_workgroup_size: 256
    .name:           _ZN9rocsparseL31bsrmm_large_blockdim_kernel_extILj16ELj16ELj2EllaaiiEEvb20rocsparse_direction_T3_S2_llNS_24const_host_device_scalarIT7_EEPKT2_PKS2_PKT4_S2_PKT5_llS5_PT6_ll16rocsparse_order_21rocsparse_index_base_b
    .private_segment_fixed_size: 0
    .sgpr_count:     56
    .sgpr_spill_count: 0
    .symbol:         _ZN9rocsparseL31bsrmm_large_blockdim_kernel_extILj16ELj16ELj2EllaaiiEEvb20rocsparse_direction_T3_S2_llNS_24const_host_device_scalarIT7_EEPKT2_PKS2_PKT4_S2_PKT5_llS5_PT6_ll16rocsparse_order_21rocsparse_index_base_b.kd
    .uniform_work_group_size: 1
    .uses_dynamic_stack: false
    .vgpr_count:     30
    .vgpr_spill_count: 0
    .wavefront_size: 64
  - .agpr_count:     0
    .args:
      - .offset:         0
        .size:           1
        .value_kind:     by_value
      - .offset:         4
        .size:           4
        .value_kind:     by_value
      - .offset:         8
        .size:           8
        .value_kind:     by_value
      - .offset:         16
        .size:           8
        .value_kind:     by_value
      - .offset:         24
        .size:           8
        .value_kind:     by_value
      - .offset:         32
        .size:           8
        .value_kind:     by_value
      - .offset:         40
        .size:           8
        .value_kind:     by_value
      - .actual_access:  read_only
        .address_space:  global
        .offset:         48
        .size:           8
        .value_kind:     global_buffer
      - .actual_access:  read_only
        .address_space:  global
        .offset:         56
        .size:           8
        .value_kind:     global_buffer
      - .actual_access:  read_only
        .address_space:  global
        .offset:         64
        .size:           8
        .value_kind:     global_buffer
      - .offset:         72
        .size:           8
        .value_kind:     by_value
      - .actual_access:  read_only
        .address_space:  global
        .offset:         80
        .size:           8
        .value_kind:     global_buffer
      - .offset:         88
        .size:           8
        .value_kind:     by_value
      - .offset:         96
        .size:           8
        .value_kind:     by_value
      - .offset:         104
        .size:           8
        .value_kind:     by_value
      - .address_space:  global
        .offset:         112
        .size:           8
        .value_kind:     global_buffer
      - .offset:         120
        .size:           8
        .value_kind:     by_value
      - .offset:         128
        .size:           8
        .value_kind:     by_value
      - .offset:         136
        .size:           4
        .value_kind:     by_value
      - .offset:         140
        .size:           4
        .value_kind:     by_value
      - .offset:         144
        .size:           1
        .value_kind:     by_value
    .group_segment_fixed_size: 12288
    .kernarg_segment_align: 8
    .kernarg_segment_size: 148
    .language:       OpenCL C
    .language_version:
      - 2
      - 0
    .max_flat_workgroup_size: 1024
    .name:           _ZN9rocsparseL31bsrmm_large_blockdim_kernel_extILj32ELj32ELj2EllaaiiEEvb20rocsparse_direction_T3_S2_llNS_24const_host_device_scalarIT7_EEPKT2_PKS2_PKT4_S2_PKT5_llS5_PT6_ll16rocsparse_order_21rocsparse_index_base_b
    .private_segment_fixed_size: 0
    .sgpr_count:     54
    .sgpr_spill_count: 0
    .symbol:         _ZN9rocsparseL31bsrmm_large_blockdim_kernel_extILj32ELj32ELj2EllaaiiEEvb20rocsparse_direction_T3_S2_llNS_24const_host_device_scalarIT7_EEPKT2_PKS2_PKT4_S2_PKT5_llS5_PT6_ll16rocsparse_order_21rocsparse_index_base_b.kd
    .uniform_work_group_size: 1
    .uses_dynamic_stack: false
    .vgpr_count:     32
    .vgpr_spill_count: 0
    .wavefront_size: 64
  - .agpr_count:     0
    .args:
      - .offset:         0
        .size:           1
        .value_kind:     by_value
      - .offset:         4
        .size:           4
        .value_kind:     by_value
      - .offset:         8
        .size:           4
        .value_kind:     by_value
      - .offset:         12
        .size:           4
        .value_kind:     by_value
      - .offset:         16
        .size:           8
        .value_kind:     by_value
      - .offset:         24
        .size:           8
        .value_kind:     by_value
      - .offset:         32
        .size:           8
        .value_kind:     by_value
      - .actual_access:  read_only
        .address_space:  global
        .offset:         40
        .size:           8
        .value_kind:     global_buffer
      - .actual_access:  read_only
        .address_space:  global
        .offset:         48
        .size:           8
        .value_kind:     global_buffer
      - .actual_access:  read_only
        .address_space:  global
        .offset:         56
        .size:           8
        .value_kind:     global_buffer
      - .offset:         64
        .size:           4
        .value_kind:     by_value
      - .actual_access:  read_only
        .address_space:  global
        .offset:         72
        .size:           8
        .value_kind:     global_buffer
      - .offset:         80
        .size:           8
        .value_kind:     by_value
      - .offset:         88
        .size:           8
        .value_kind:     by_value
      - .offset:         96
        .size:           8
        .value_kind:     by_value
      - .address_space:  global
        .offset:         104
        .size:           8
        .value_kind:     global_buffer
      - .offset:         112
        .size:           8
        .value_kind:     by_value
      - .offset:         120
        .size:           8
        .value_kind:     by_value
      - .offset:         128
        .size:           4
        .value_kind:     by_value
      - .offset:         132
        .size:           4
        .value_kind:     by_value
      - .offset:         136
        .size:           1
        .value_kind:     by_value
    .group_segment_fixed_size: 768
    .kernarg_segment_align: 8
    .kernarg_segment_size: 140
    .language:       OpenCL C
    .language_version:
      - 2
      - 0
    .max_flat_workgroup_size: 64
    .name:           _ZN9rocsparseL31bsrmm_large_blockdim_kernel_extILj8ELj8ELj2EiiaaffEEvb20rocsparse_direction_T3_S2_llNS_24const_host_device_scalarIT7_EEPKT2_PKS2_PKT4_S2_PKT5_llS5_PT6_ll16rocsparse_order_21rocsparse_index_base_b
    .private_segment_fixed_size: 0
    .sgpr_count:     46
    .sgpr_spill_count: 0
    .symbol:         _ZN9rocsparseL31bsrmm_large_blockdim_kernel_extILj8ELj8ELj2EiiaaffEEvb20rocsparse_direction_T3_S2_llNS_24const_host_device_scalarIT7_EEPKT2_PKS2_PKT4_S2_PKT5_llS5_PT6_ll16rocsparse_order_21rocsparse_index_base_b.kd
    .uniform_work_group_size: 1
    .uses_dynamic_stack: false
    .vgpr_count:     26
    .vgpr_spill_count: 0
    .wavefront_size: 64
  - .agpr_count:     0
    .args:
      - .offset:         0
        .size:           1
        .value_kind:     by_value
      - .offset:         4
        .size:           4
        .value_kind:     by_value
      - .offset:         8
        .size:           4
        .value_kind:     by_value
      - .offset:         12
        .size:           4
        .value_kind:     by_value
      - .offset:         16
        .size:           8
        .value_kind:     by_value
      - .offset:         24
        .size:           8
        .value_kind:     by_value
      - .offset:         32
        .size:           8
        .value_kind:     by_value
      - .actual_access:  read_only
        .address_space:  global
        .offset:         40
        .size:           8
        .value_kind:     global_buffer
      - .actual_access:  read_only
        .address_space:  global
        .offset:         48
        .size:           8
        .value_kind:     global_buffer
      - .actual_access:  read_only
        .address_space:  global
        .offset:         56
        .size:           8
        .value_kind:     global_buffer
      - .offset:         64
        .size:           4
        .value_kind:     by_value
      - .actual_access:  read_only
        .address_space:  global
        .offset:         72
        .size:           8
        .value_kind:     global_buffer
      - .offset:         80
        .size:           8
        .value_kind:     by_value
      - .offset:         88
        .size:           8
        .value_kind:     by_value
      - .offset:         96
        .size:           8
        .value_kind:     by_value
      - .address_space:  global
        .offset:         104
        .size:           8
        .value_kind:     global_buffer
      - .offset:         112
        .size:           8
        .value_kind:     by_value
      - .offset:         120
        .size:           8
        .value_kind:     by_value
      - .offset:         128
        .size:           4
        .value_kind:     by_value
      - .offset:         132
        .size:           4
        .value_kind:     by_value
      - .offset:         136
        .size:           1
        .value_kind:     by_value
    .group_segment_fixed_size: 576
    .kernarg_segment_align: 8
    .kernarg_segment_size: 140
    .language:       OpenCL C
    .language_version:
      - 2
      - 0
    .max_flat_workgroup_size: 64
    .name:           _ZN9rocsparseL31bsrmm_large_blockdim_kernel_extILj4ELj16ELj2EiiaaffEEvb20rocsparse_direction_T3_S2_llNS_24const_host_device_scalarIT7_EEPKT2_PKS2_PKT4_S2_PKT5_llS5_PT6_ll16rocsparse_order_21rocsparse_index_base_b
    .private_segment_fixed_size: 0
    .sgpr_count:     46
    .sgpr_spill_count: 0
    .symbol:         _ZN9rocsparseL31bsrmm_large_blockdim_kernel_extILj4ELj16ELj2EiiaaffEEvb20rocsparse_direction_T3_S2_llNS_24const_host_device_scalarIT7_EEPKT2_PKS2_PKT4_S2_PKT5_llS5_PT6_ll16rocsparse_order_21rocsparse_index_base_b.kd
    .uniform_work_group_size: 1
    .uses_dynamic_stack: false
    .vgpr_count:     26
    .vgpr_spill_count: 0
    .wavefront_size: 64
  - .agpr_count:     0
    .args:
      - .offset:         0
        .size:           1
        .value_kind:     by_value
      - .offset:         4
        .size:           4
        .value_kind:     by_value
      - .offset:         8
        .size:           4
        .value_kind:     by_value
      - .offset:         12
        .size:           4
        .value_kind:     by_value
      - .offset:         16
        .size:           8
        .value_kind:     by_value
      - .offset:         24
        .size:           8
        .value_kind:     by_value
      - .offset:         32
        .size:           8
        .value_kind:     by_value
      - .actual_access:  read_only
        .address_space:  global
        .offset:         40
        .size:           8
        .value_kind:     global_buffer
      - .actual_access:  read_only
        .address_space:  global
        .offset:         48
        .size:           8
        .value_kind:     global_buffer
      - .actual_access:  read_only
        .address_space:  global
        .offset:         56
        .size:           8
        .value_kind:     global_buffer
      - .offset:         64
        .size:           4
        .value_kind:     by_value
      - .actual_access:  read_only
        .address_space:  global
        .offset:         72
        .size:           8
        .value_kind:     global_buffer
      - .offset:         80
        .size:           8
        .value_kind:     by_value
      - .offset:         88
        .size:           8
        .value_kind:     by_value
      - .offset:         96
        .size:           8
        .value_kind:     by_value
      - .address_space:  global
        .offset:         104
        .size:           8
        .value_kind:     global_buffer
      - .offset:         112
        .size:           8
        .value_kind:     by_value
      - .offset:         120
        .size:           8
        .value_kind:     by_value
      - .offset:         128
        .size:           4
        .value_kind:     by_value
      - .offset:         132
        .size:           4
        .value_kind:     by_value
      - .offset:         136
        .size:           1
        .value_kind:     by_value
    .group_segment_fixed_size: 3072
    .kernarg_segment_align: 8
    .kernarg_segment_size: 140
    .language:       OpenCL C
    .language_version:
      - 2
      - 0
    .max_flat_workgroup_size: 256
    .name:           _ZN9rocsparseL31bsrmm_large_blockdim_kernel_extILj16ELj16ELj2EiiaaffEEvb20rocsparse_direction_T3_S2_llNS_24const_host_device_scalarIT7_EEPKT2_PKS2_PKT4_S2_PKT5_llS5_PT6_ll16rocsparse_order_21rocsparse_index_base_b
    .private_segment_fixed_size: 0
    .sgpr_count:     46
    .sgpr_spill_count: 0
    .symbol:         _ZN9rocsparseL31bsrmm_large_blockdim_kernel_extILj16ELj16ELj2EiiaaffEEvb20rocsparse_direction_T3_S2_llNS_24const_host_device_scalarIT7_EEPKT2_PKS2_PKT4_S2_PKT5_llS5_PT6_ll16rocsparse_order_21rocsparse_index_base_b.kd
    .uniform_work_group_size: 1
    .uses_dynamic_stack: false
    .vgpr_count:     26
    .vgpr_spill_count: 0
    .wavefront_size: 64
  - .agpr_count:     0
    .args:
      - .offset:         0
        .size:           1
        .value_kind:     by_value
      - .offset:         4
        .size:           4
        .value_kind:     by_value
      - .offset:         8
        .size:           4
        .value_kind:     by_value
      - .offset:         12
        .size:           4
        .value_kind:     by_value
      - .offset:         16
        .size:           8
        .value_kind:     by_value
      - .offset:         24
        .size:           8
        .value_kind:     by_value
      - .offset:         32
        .size:           8
        .value_kind:     by_value
      - .actual_access:  read_only
        .address_space:  global
        .offset:         40
        .size:           8
        .value_kind:     global_buffer
      - .actual_access:  read_only
        .address_space:  global
        .offset:         48
        .size:           8
        .value_kind:     global_buffer
      - .actual_access:  read_only
        .address_space:  global
        .offset:         56
        .size:           8
        .value_kind:     global_buffer
      - .offset:         64
        .size:           4
        .value_kind:     by_value
      - .actual_access:  read_only
        .address_space:  global
        .offset:         72
        .size:           8
        .value_kind:     global_buffer
      - .offset:         80
        .size:           8
        .value_kind:     by_value
      - .offset:         88
        .size:           8
        .value_kind:     by_value
      - .offset:         96
        .size:           8
        .value_kind:     by_value
      - .address_space:  global
        .offset:         104
        .size:           8
        .value_kind:     global_buffer
      - .offset:         112
        .size:           8
        .value_kind:     by_value
      - .offset:         120
        .size:           8
        .value_kind:     by_value
      - .offset:         128
        .size:           4
        .value_kind:     by_value
      - .offset:         132
        .size:           4
        .value_kind:     by_value
      - .offset:         136
        .size:           1
        .value_kind:     by_value
    .group_segment_fixed_size: 12288
    .kernarg_segment_align: 8
    .kernarg_segment_size: 140
    .language:       OpenCL C
    .language_version:
      - 2
      - 0
    .max_flat_workgroup_size: 1024
    .name:           _ZN9rocsparseL31bsrmm_large_blockdim_kernel_extILj32ELj32ELj2EiiaaffEEvb20rocsparse_direction_T3_S2_llNS_24const_host_device_scalarIT7_EEPKT2_PKS2_PKT4_S2_PKT5_llS5_PT6_ll16rocsparse_order_21rocsparse_index_base_b
    .private_segment_fixed_size: 0
    .sgpr_count:     46
    .sgpr_spill_count: 0
    .symbol:         _ZN9rocsparseL31bsrmm_large_blockdim_kernel_extILj32ELj32ELj2EiiaaffEEvb20rocsparse_direction_T3_S2_llNS_24const_host_device_scalarIT7_EEPKT2_PKS2_PKT4_S2_PKT5_llS5_PT6_ll16rocsparse_order_21rocsparse_index_base_b.kd
    .uniform_work_group_size: 1
    .uses_dynamic_stack: false
    .vgpr_count:     26
    .vgpr_spill_count: 0
    .wavefront_size: 64
  - .agpr_count:     0
    .args:
      - .offset:         0
        .size:           1
        .value_kind:     by_value
      - .offset:         4
        .size:           4
        .value_kind:     by_value
      - .offset:         8
        .size:           4
        .value_kind:     by_value
      - .offset:         12
        .size:           4
        .value_kind:     by_value
      - .offset:         16
        .size:           8
        .value_kind:     by_value
      - .offset:         24
        .size:           8
        .value_kind:     by_value
      - .offset:         32
        .size:           8
        .value_kind:     by_value
      - .actual_access:  read_only
        .address_space:  global
        .offset:         40
        .size:           8
        .value_kind:     global_buffer
      - .actual_access:  read_only
        .address_space:  global
        .offset:         48
        .size:           8
        .value_kind:     global_buffer
      - .actual_access:  read_only
        .address_space:  global
        .offset:         56
        .size:           8
        .value_kind:     global_buffer
      - .offset:         64
        .size:           4
        .value_kind:     by_value
      - .actual_access:  read_only
        .address_space:  global
        .offset:         72
        .size:           8
        .value_kind:     global_buffer
      - .offset:         80
        .size:           8
        .value_kind:     by_value
      - .offset:         88
        .size:           8
        .value_kind:     by_value
      - .offset:         96
        .size:           8
        .value_kind:     by_value
      - .address_space:  global
        .offset:         104
        .size:           8
        .value_kind:     global_buffer
      - .offset:         112
        .size:           8
        .value_kind:     by_value
      - .offset:         120
        .size:           8
        .value_kind:     by_value
      - .offset:         128
        .size:           4
        .value_kind:     by_value
      - .offset:         132
        .size:           4
        .value_kind:     by_value
      - .offset:         136
        .size:           1
        .value_kind:     by_value
    .group_segment_fixed_size: 768
    .kernarg_segment_align: 8
    .kernarg_segment_size: 140
    .language:       OpenCL C
    .language_version:
      - 2
      - 0
    .max_flat_workgroup_size: 64
    .name:           _ZN9rocsparseL31bsrmm_large_blockdim_kernel_extILj8ELj8ELj2EliaaffEEvb20rocsparse_direction_T3_S2_llNS_24const_host_device_scalarIT7_EEPKT2_PKS2_PKT4_S2_PKT5_llS5_PT6_ll16rocsparse_order_21rocsparse_index_base_b
    .private_segment_fixed_size: 0
    .sgpr_count:     48
    .sgpr_spill_count: 0
    .symbol:         _ZN9rocsparseL31bsrmm_large_blockdim_kernel_extILj8ELj8ELj2EliaaffEEvb20rocsparse_direction_T3_S2_llNS_24const_host_device_scalarIT7_EEPKT2_PKS2_PKT4_S2_PKT5_llS5_PT6_ll16rocsparse_order_21rocsparse_index_base_b.kd
    .uniform_work_group_size: 1
    .uses_dynamic_stack: false
    .vgpr_count:     26
    .vgpr_spill_count: 0
    .wavefront_size: 64
  - .agpr_count:     0
    .args:
      - .offset:         0
        .size:           1
        .value_kind:     by_value
      - .offset:         4
        .size:           4
        .value_kind:     by_value
      - .offset:         8
        .size:           4
        .value_kind:     by_value
      - .offset:         12
        .size:           4
        .value_kind:     by_value
      - .offset:         16
        .size:           8
        .value_kind:     by_value
      - .offset:         24
        .size:           8
        .value_kind:     by_value
      - .offset:         32
        .size:           8
        .value_kind:     by_value
      - .actual_access:  read_only
        .address_space:  global
        .offset:         40
        .size:           8
        .value_kind:     global_buffer
      - .actual_access:  read_only
        .address_space:  global
        .offset:         48
        .size:           8
        .value_kind:     global_buffer
      - .actual_access:  read_only
        .address_space:  global
        .offset:         56
        .size:           8
        .value_kind:     global_buffer
      - .offset:         64
        .size:           4
        .value_kind:     by_value
      - .actual_access:  read_only
        .address_space:  global
        .offset:         72
        .size:           8
        .value_kind:     global_buffer
      - .offset:         80
        .size:           8
        .value_kind:     by_value
      - .offset:         88
        .size:           8
        .value_kind:     by_value
      - .offset:         96
        .size:           8
        .value_kind:     by_value
      - .address_space:  global
        .offset:         104
        .size:           8
        .value_kind:     global_buffer
      - .offset:         112
        .size:           8
        .value_kind:     by_value
      - .offset:         120
        .size:           8
        .value_kind:     by_value
      - .offset:         128
        .size:           4
        .value_kind:     by_value
      - .offset:         132
        .size:           4
        .value_kind:     by_value
      - .offset:         136
        .size:           1
        .value_kind:     by_value
    .group_segment_fixed_size: 576
    .kernarg_segment_align: 8
    .kernarg_segment_size: 140
    .language:       OpenCL C
    .language_version:
      - 2
      - 0
    .max_flat_workgroup_size: 64
    .name:           _ZN9rocsparseL31bsrmm_large_blockdim_kernel_extILj4ELj16ELj2EliaaffEEvb20rocsparse_direction_T3_S2_llNS_24const_host_device_scalarIT7_EEPKT2_PKS2_PKT4_S2_PKT5_llS5_PT6_ll16rocsparse_order_21rocsparse_index_base_b
    .private_segment_fixed_size: 0
    .sgpr_count:     48
    .sgpr_spill_count: 0
    .symbol:         _ZN9rocsparseL31bsrmm_large_blockdim_kernel_extILj4ELj16ELj2EliaaffEEvb20rocsparse_direction_T3_S2_llNS_24const_host_device_scalarIT7_EEPKT2_PKS2_PKT4_S2_PKT5_llS5_PT6_ll16rocsparse_order_21rocsparse_index_base_b.kd
    .uniform_work_group_size: 1
    .uses_dynamic_stack: false
    .vgpr_count:     26
    .vgpr_spill_count: 0
    .wavefront_size: 64
  - .agpr_count:     0
    .args:
      - .offset:         0
        .size:           1
        .value_kind:     by_value
      - .offset:         4
        .size:           4
        .value_kind:     by_value
      - .offset:         8
        .size:           4
        .value_kind:     by_value
      - .offset:         12
        .size:           4
        .value_kind:     by_value
      - .offset:         16
        .size:           8
        .value_kind:     by_value
      - .offset:         24
        .size:           8
        .value_kind:     by_value
      - .offset:         32
        .size:           8
        .value_kind:     by_value
      - .actual_access:  read_only
        .address_space:  global
        .offset:         40
        .size:           8
        .value_kind:     global_buffer
      - .actual_access:  read_only
        .address_space:  global
        .offset:         48
        .size:           8
        .value_kind:     global_buffer
      - .actual_access:  read_only
        .address_space:  global
        .offset:         56
        .size:           8
        .value_kind:     global_buffer
      - .offset:         64
        .size:           4
        .value_kind:     by_value
      - .actual_access:  read_only
        .address_space:  global
        .offset:         72
        .size:           8
        .value_kind:     global_buffer
      - .offset:         80
        .size:           8
        .value_kind:     by_value
      - .offset:         88
        .size:           8
        .value_kind:     by_value
      - .offset:         96
        .size:           8
        .value_kind:     by_value
      - .address_space:  global
        .offset:         104
        .size:           8
        .value_kind:     global_buffer
      - .offset:         112
        .size:           8
        .value_kind:     by_value
      - .offset:         120
        .size:           8
        .value_kind:     by_value
      - .offset:         128
        .size:           4
        .value_kind:     by_value
      - .offset:         132
        .size:           4
        .value_kind:     by_value
      - .offset:         136
        .size:           1
        .value_kind:     by_value
    .group_segment_fixed_size: 3072
    .kernarg_segment_align: 8
    .kernarg_segment_size: 140
    .language:       OpenCL C
    .language_version:
      - 2
      - 0
    .max_flat_workgroup_size: 256
    .name:           _ZN9rocsparseL31bsrmm_large_blockdim_kernel_extILj16ELj16ELj2EliaaffEEvb20rocsparse_direction_T3_S2_llNS_24const_host_device_scalarIT7_EEPKT2_PKS2_PKT4_S2_PKT5_llS5_PT6_ll16rocsparse_order_21rocsparse_index_base_b
    .private_segment_fixed_size: 0
    .sgpr_count:     48
    .sgpr_spill_count: 0
    .symbol:         _ZN9rocsparseL31bsrmm_large_blockdim_kernel_extILj16ELj16ELj2EliaaffEEvb20rocsparse_direction_T3_S2_llNS_24const_host_device_scalarIT7_EEPKT2_PKS2_PKT4_S2_PKT5_llS5_PT6_ll16rocsparse_order_21rocsparse_index_base_b.kd
    .uniform_work_group_size: 1
    .uses_dynamic_stack: false
    .vgpr_count:     26
    .vgpr_spill_count: 0
    .wavefront_size: 64
  - .agpr_count:     0
    .args:
      - .offset:         0
        .size:           1
        .value_kind:     by_value
      - .offset:         4
        .size:           4
        .value_kind:     by_value
      - .offset:         8
        .size:           4
        .value_kind:     by_value
      - .offset:         12
        .size:           4
        .value_kind:     by_value
      - .offset:         16
        .size:           8
        .value_kind:     by_value
      - .offset:         24
        .size:           8
        .value_kind:     by_value
      - .offset:         32
        .size:           8
        .value_kind:     by_value
      - .actual_access:  read_only
        .address_space:  global
        .offset:         40
        .size:           8
        .value_kind:     global_buffer
      - .actual_access:  read_only
        .address_space:  global
        .offset:         48
        .size:           8
        .value_kind:     global_buffer
      - .actual_access:  read_only
        .address_space:  global
        .offset:         56
        .size:           8
        .value_kind:     global_buffer
      - .offset:         64
        .size:           4
        .value_kind:     by_value
      - .actual_access:  read_only
        .address_space:  global
        .offset:         72
        .size:           8
        .value_kind:     global_buffer
      - .offset:         80
        .size:           8
        .value_kind:     by_value
      - .offset:         88
        .size:           8
        .value_kind:     by_value
      - .offset:         96
        .size:           8
        .value_kind:     by_value
      - .address_space:  global
        .offset:         104
        .size:           8
        .value_kind:     global_buffer
      - .offset:         112
        .size:           8
        .value_kind:     by_value
      - .offset:         120
        .size:           8
        .value_kind:     by_value
      - .offset:         128
        .size:           4
        .value_kind:     by_value
      - .offset:         132
        .size:           4
        .value_kind:     by_value
      - .offset:         136
        .size:           1
        .value_kind:     by_value
    .group_segment_fixed_size: 12288
    .kernarg_segment_align: 8
    .kernarg_segment_size: 140
    .language:       OpenCL C
    .language_version:
      - 2
      - 0
    .max_flat_workgroup_size: 1024
    .name:           _ZN9rocsparseL31bsrmm_large_blockdim_kernel_extILj32ELj32ELj2EliaaffEEvb20rocsparse_direction_T3_S2_llNS_24const_host_device_scalarIT7_EEPKT2_PKS2_PKT4_S2_PKT5_llS5_PT6_ll16rocsparse_order_21rocsparse_index_base_b
    .private_segment_fixed_size: 0
    .sgpr_count:     48
    .sgpr_spill_count: 0
    .symbol:         _ZN9rocsparseL31bsrmm_large_blockdim_kernel_extILj32ELj32ELj2EliaaffEEvb20rocsparse_direction_T3_S2_llNS_24const_host_device_scalarIT7_EEPKT2_PKS2_PKT4_S2_PKT5_llS5_PT6_ll16rocsparse_order_21rocsparse_index_base_b.kd
    .uniform_work_group_size: 1
    .uses_dynamic_stack: false
    .vgpr_count:     28
    .vgpr_spill_count: 0
    .wavefront_size: 64
  - .agpr_count:     0
    .args:
      - .offset:         0
        .size:           1
        .value_kind:     by_value
      - .offset:         4
        .size:           4
        .value_kind:     by_value
      - .offset:         8
        .size:           8
        .value_kind:     by_value
      - .offset:         16
        .size:           8
        .value_kind:     by_value
      - .offset:         24
        .size:           8
        .value_kind:     by_value
      - .offset:         32
        .size:           8
        .value_kind:     by_value
      - .offset:         40
        .size:           8
        .value_kind:     by_value
      - .actual_access:  read_only
        .address_space:  global
        .offset:         48
        .size:           8
        .value_kind:     global_buffer
      - .actual_access:  read_only
        .address_space:  global
        .offset:         56
        .size:           8
        .value_kind:     global_buffer
      - .actual_access:  read_only
        .address_space:  global
        .offset:         64
        .size:           8
        .value_kind:     global_buffer
      - .offset:         72
        .size:           8
        .value_kind:     by_value
      - .actual_access:  read_only
        .address_space:  global
        .offset:         80
        .size:           8
        .value_kind:     global_buffer
      - .offset:         88
        .size:           8
        .value_kind:     by_value
      - .offset:         96
        .size:           8
        .value_kind:     by_value
      - .offset:         104
        .size:           8
        .value_kind:     by_value
      - .address_space:  global
        .offset:         112
        .size:           8
        .value_kind:     global_buffer
      - .offset:         120
        .size:           8
        .value_kind:     by_value
      - .offset:         128
        .size:           8
        .value_kind:     by_value
      - .offset:         136
        .size:           4
        .value_kind:     by_value
      - .offset:         140
        .size:           4
        .value_kind:     by_value
      - .offset:         144
        .size:           1
        .value_kind:     by_value
    .group_segment_fixed_size: 768
    .kernarg_segment_align: 8
    .kernarg_segment_size: 148
    .language:       OpenCL C
    .language_version:
      - 2
      - 0
    .max_flat_workgroup_size: 64
    .name:           _ZN9rocsparseL31bsrmm_large_blockdim_kernel_extILj8ELj8ELj2EllaaffEEvb20rocsparse_direction_T3_S2_llNS_24const_host_device_scalarIT7_EEPKT2_PKS2_PKT4_S2_PKT5_llS5_PT6_ll16rocsparse_order_21rocsparse_index_base_b
    .private_segment_fixed_size: 0
    .sgpr_count:     56
    .sgpr_spill_count: 0
    .symbol:         _ZN9rocsparseL31bsrmm_large_blockdim_kernel_extILj8ELj8ELj2EllaaffEEvb20rocsparse_direction_T3_S2_llNS_24const_host_device_scalarIT7_EEPKT2_PKS2_PKT4_S2_PKT5_llS5_PT6_ll16rocsparse_order_21rocsparse_index_base_b.kd
    .uniform_work_group_size: 1
    .uses_dynamic_stack: false
    .vgpr_count:     30
    .vgpr_spill_count: 0
    .wavefront_size: 64
  - .agpr_count:     0
    .args:
      - .offset:         0
        .size:           1
        .value_kind:     by_value
      - .offset:         4
        .size:           4
        .value_kind:     by_value
      - .offset:         8
        .size:           8
        .value_kind:     by_value
      - .offset:         16
        .size:           8
        .value_kind:     by_value
      - .offset:         24
        .size:           8
        .value_kind:     by_value
      - .offset:         32
        .size:           8
        .value_kind:     by_value
      - .offset:         40
        .size:           8
        .value_kind:     by_value
      - .actual_access:  read_only
        .address_space:  global
        .offset:         48
        .size:           8
        .value_kind:     global_buffer
      - .actual_access:  read_only
        .address_space:  global
        .offset:         56
        .size:           8
        .value_kind:     global_buffer
      - .actual_access:  read_only
        .address_space:  global
        .offset:         64
        .size:           8
        .value_kind:     global_buffer
      - .offset:         72
        .size:           8
        .value_kind:     by_value
      - .actual_access:  read_only
        .address_space:  global
        .offset:         80
        .size:           8
        .value_kind:     global_buffer
      - .offset:         88
        .size:           8
        .value_kind:     by_value
      - .offset:         96
        .size:           8
        .value_kind:     by_value
      - .offset:         104
        .size:           8
        .value_kind:     by_value
      - .address_space:  global
        .offset:         112
        .size:           8
        .value_kind:     global_buffer
      - .offset:         120
        .size:           8
        .value_kind:     by_value
      - .offset:         128
        .size:           8
        .value_kind:     by_value
      - .offset:         136
        .size:           4
        .value_kind:     by_value
      - .offset:         140
        .size:           4
        .value_kind:     by_value
      - .offset:         144
        .size:           1
        .value_kind:     by_value
    .group_segment_fixed_size: 576
    .kernarg_segment_align: 8
    .kernarg_segment_size: 148
    .language:       OpenCL C
    .language_version:
      - 2
      - 0
    .max_flat_workgroup_size: 64
    .name:           _ZN9rocsparseL31bsrmm_large_blockdim_kernel_extILj4ELj16ELj2EllaaffEEvb20rocsparse_direction_T3_S2_llNS_24const_host_device_scalarIT7_EEPKT2_PKS2_PKT4_S2_PKT5_llS5_PT6_ll16rocsparse_order_21rocsparse_index_base_b
    .private_segment_fixed_size: 0
    .sgpr_count:     56
    .sgpr_spill_count: 0
    .symbol:         _ZN9rocsparseL31bsrmm_large_blockdim_kernel_extILj4ELj16ELj2EllaaffEEvb20rocsparse_direction_T3_S2_llNS_24const_host_device_scalarIT7_EEPKT2_PKS2_PKT4_S2_PKT5_llS5_PT6_ll16rocsparse_order_21rocsparse_index_base_b.kd
    .uniform_work_group_size: 1
    .uses_dynamic_stack: false
    .vgpr_count:     30
    .vgpr_spill_count: 0
    .wavefront_size: 64
  - .agpr_count:     0
    .args:
      - .offset:         0
        .size:           1
        .value_kind:     by_value
      - .offset:         4
        .size:           4
        .value_kind:     by_value
      - .offset:         8
        .size:           8
        .value_kind:     by_value
      - .offset:         16
        .size:           8
        .value_kind:     by_value
      - .offset:         24
        .size:           8
        .value_kind:     by_value
      - .offset:         32
        .size:           8
        .value_kind:     by_value
      - .offset:         40
        .size:           8
        .value_kind:     by_value
      - .actual_access:  read_only
        .address_space:  global
        .offset:         48
        .size:           8
        .value_kind:     global_buffer
      - .actual_access:  read_only
        .address_space:  global
        .offset:         56
        .size:           8
        .value_kind:     global_buffer
      - .actual_access:  read_only
        .address_space:  global
        .offset:         64
        .size:           8
        .value_kind:     global_buffer
      - .offset:         72
        .size:           8
        .value_kind:     by_value
      - .actual_access:  read_only
        .address_space:  global
        .offset:         80
        .size:           8
        .value_kind:     global_buffer
      - .offset:         88
        .size:           8
        .value_kind:     by_value
      - .offset:         96
        .size:           8
        .value_kind:     by_value
      - .offset:         104
        .size:           8
        .value_kind:     by_value
      - .address_space:  global
        .offset:         112
        .size:           8
        .value_kind:     global_buffer
      - .offset:         120
        .size:           8
        .value_kind:     by_value
      - .offset:         128
        .size:           8
        .value_kind:     by_value
      - .offset:         136
        .size:           4
        .value_kind:     by_value
      - .offset:         140
        .size:           4
        .value_kind:     by_value
      - .offset:         144
        .size:           1
        .value_kind:     by_value
    .group_segment_fixed_size: 3072
    .kernarg_segment_align: 8
    .kernarg_segment_size: 148
    .language:       OpenCL C
    .language_version:
      - 2
      - 0
    .max_flat_workgroup_size: 256
    .name:           _ZN9rocsparseL31bsrmm_large_blockdim_kernel_extILj16ELj16ELj2EllaaffEEvb20rocsparse_direction_T3_S2_llNS_24const_host_device_scalarIT7_EEPKT2_PKS2_PKT4_S2_PKT5_llS5_PT6_ll16rocsparse_order_21rocsparse_index_base_b
    .private_segment_fixed_size: 0
    .sgpr_count:     56
    .sgpr_spill_count: 0
    .symbol:         _ZN9rocsparseL31bsrmm_large_blockdim_kernel_extILj16ELj16ELj2EllaaffEEvb20rocsparse_direction_T3_S2_llNS_24const_host_device_scalarIT7_EEPKT2_PKS2_PKT4_S2_PKT5_llS5_PT6_ll16rocsparse_order_21rocsparse_index_base_b.kd
    .uniform_work_group_size: 1
    .uses_dynamic_stack: false
    .vgpr_count:     30
    .vgpr_spill_count: 0
    .wavefront_size: 64
  - .agpr_count:     0
    .args:
      - .offset:         0
        .size:           1
        .value_kind:     by_value
      - .offset:         4
        .size:           4
        .value_kind:     by_value
      - .offset:         8
        .size:           8
        .value_kind:     by_value
      - .offset:         16
        .size:           8
        .value_kind:     by_value
      - .offset:         24
        .size:           8
        .value_kind:     by_value
      - .offset:         32
        .size:           8
        .value_kind:     by_value
      - .offset:         40
        .size:           8
        .value_kind:     by_value
      - .actual_access:  read_only
        .address_space:  global
        .offset:         48
        .size:           8
        .value_kind:     global_buffer
      - .actual_access:  read_only
        .address_space:  global
        .offset:         56
        .size:           8
        .value_kind:     global_buffer
      - .actual_access:  read_only
        .address_space:  global
        .offset:         64
        .size:           8
        .value_kind:     global_buffer
      - .offset:         72
        .size:           8
        .value_kind:     by_value
      - .actual_access:  read_only
        .address_space:  global
        .offset:         80
        .size:           8
        .value_kind:     global_buffer
      - .offset:         88
        .size:           8
        .value_kind:     by_value
      - .offset:         96
        .size:           8
        .value_kind:     by_value
      - .offset:         104
        .size:           8
        .value_kind:     by_value
      - .address_space:  global
        .offset:         112
        .size:           8
        .value_kind:     global_buffer
      - .offset:         120
        .size:           8
        .value_kind:     by_value
      - .offset:         128
        .size:           8
        .value_kind:     by_value
      - .offset:         136
        .size:           4
        .value_kind:     by_value
      - .offset:         140
        .size:           4
        .value_kind:     by_value
      - .offset:         144
        .size:           1
        .value_kind:     by_value
    .group_segment_fixed_size: 12288
    .kernarg_segment_align: 8
    .kernarg_segment_size: 148
    .language:       OpenCL C
    .language_version:
      - 2
      - 0
    .max_flat_workgroup_size: 1024
    .name:           _ZN9rocsparseL31bsrmm_large_blockdim_kernel_extILj32ELj32ELj2EllaaffEEvb20rocsparse_direction_T3_S2_llNS_24const_host_device_scalarIT7_EEPKT2_PKS2_PKT4_S2_PKT5_llS5_PT6_ll16rocsparse_order_21rocsparse_index_base_b
    .private_segment_fixed_size: 0
    .sgpr_count:     54
    .sgpr_spill_count: 0
    .symbol:         _ZN9rocsparseL31bsrmm_large_blockdim_kernel_extILj32ELj32ELj2EllaaffEEvb20rocsparse_direction_T3_S2_llNS_24const_host_device_scalarIT7_EEPKT2_PKS2_PKT4_S2_PKT5_llS5_PT6_ll16rocsparse_order_21rocsparse_index_base_b.kd
    .uniform_work_group_size: 1
    .uses_dynamic_stack: false
    .vgpr_count:     32
    .vgpr_spill_count: 0
    .wavefront_size: 64
amdhsa.target:   amdgcn-amd-amdhsa--gfx950
amdhsa.version:
  - 1
  - 2
...

	.end_amdgpu_metadata
